;; amdgpu-corpus repo=ROCm/rocFFT kind=compiled arch=gfx906 opt=O3
	.text
	.amdgcn_target "amdgcn-amd-amdhsa--gfx906"
	.amdhsa_code_object_version 6
	.protected	fft_rtc_back_len3600_factors_10_10_6_6_wgs_120_tpt_120_halfLds_sp_op_CI_CI_sbrr_dirReg ; -- Begin function fft_rtc_back_len3600_factors_10_10_6_6_wgs_120_tpt_120_halfLds_sp_op_CI_CI_sbrr_dirReg
	.globl	fft_rtc_back_len3600_factors_10_10_6_6_wgs_120_tpt_120_halfLds_sp_op_CI_CI_sbrr_dirReg
	.p2align	8
	.type	fft_rtc_back_len3600_factors_10_10_6_6_wgs_120_tpt_120_halfLds_sp_op_CI_CI_sbrr_dirReg,@function
fft_rtc_back_len3600_factors_10_10_6_6_wgs_120_tpt_120_halfLds_sp_op_CI_CI_sbrr_dirReg: ; @fft_rtc_back_len3600_factors_10_10_6_6_wgs_120_tpt_120_halfLds_sp_op_CI_CI_sbrr_dirReg
; %bb.0:
	s_load_dwordx4 s[16:19], s[4:5], 0x18
	s_load_dwordx4 s[12:15], s[4:5], 0x0
	;; [unrolled: 1-line block ×3, first 2 shown]
	v_mul_u32_u24_e32 v1, 0x223, v0
	v_add_u32_sdwa v3, s6, v1 dst_sel:DWORD dst_unused:UNUSED_PAD src0_sel:DWORD src1_sel:WORD_1
	s_waitcnt lgkmcnt(0)
	s_load_dwordx2 s[20:21], s[16:17], 0x0
	s_load_dwordx2 s[2:3], s[18:19], 0x0
	v_cmp_lt_u64_e64 s[0:1], s[14:15], 2
	v_mov_b32_e32 v1, 0
	v_mov_b32_e32 v50, 0
	;; [unrolled: 1-line block ×3, first 2 shown]
	s_and_b64 vcc, exec, s[0:1]
	v_mov_b32_e32 v51, 0
	s_cbranch_vccnz .LBB0_8
; %bb.1:
	s_load_dwordx2 s[0:1], s[4:5], 0x10
	s_add_u32 s6, s18, 8
	s_addc_u32 s7, s19, 0
	s_add_u32 s22, s16, 8
	s_addc_u32 s23, s17, 0
	v_mov_b32_e32 v50, 0
	s_waitcnt lgkmcnt(0)
	s_add_u32 s24, s0, 8
	v_mov_b32_e32 v51, 0
	v_mov_b32_e32 v36, v50
	s_addc_u32 s25, s1, 0
	s_mov_b64 s[26:27], 1
	v_mov_b32_e32 v37, v51
.LBB0_2:                                ; =>This Inner Loop Header: Depth=1
	s_load_dwordx2 s[28:29], s[24:25], 0x0
                                        ; implicit-def: $vgpr38_vgpr39
	s_waitcnt lgkmcnt(0)
	v_or_b32_e32 v2, s29, v4
	v_cmp_ne_u64_e32 vcc, 0, v[1:2]
	s_and_saveexec_b64 s[0:1], vcc
	s_xor_b64 s[30:31], exec, s[0:1]
	s_cbranch_execz .LBB0_4
; %bb.3:                                ;   in Loop: Header=BB0_2 Depth=1
	v_cvt_f32_u32_e32 v2, s28
	v_cvt_f32_u32_e32 v5, s29
	s_sub_u32 s0, 0, s28
	s_subb_u32 s1, 0, s29
	v_mac_f32_e32 v2, 0x4f800000, v5
	v_rcp_f32_e32 v2, v2
	v_mul_f32_e32 v2, 0x5f7ffffc, v2
	v_mul_f32_e32 v5, 0x2f800000, v2
	v_trunc_f32_e32 v5, v5
	v_mac_f32_e32 v2, 0xcf800000, v5
	v_cvt_u32_f32_e32 v5, v5
	v_cvt_u32_f32_e32 v2, v2
	v_mul_lo_u32 v6, s0, v5
	v_mul_hi_u32 v7, s0, v2
	v_mul_lo_u32 v9, s1, v2
	v_mul_lo_u32 v8, s0, v2
	v_add_u32_e32 v6, v7, v6
	v_add_u32_e32 v6, v6, v9
	v_mul_hi_u32 v7, v2, v8
	v_mul_lo_u32 v9, v2, v6
	v_mul_hi_u32 v11, v2, v6
	v_mul_hi_u32 v10, v5, v8
	v_mul_lo_u32 v8, v5, v8
	v_mul_hi_u32 v12, v5, v6
	v_add_co_u32_e32 v7, vcc, v7, v9
	v_addc_co_u32_e32 v9, vcc, 0, v11, vcc
	v_mul_lo_u32 v6, v5, v6
	v_add_co_u32_e32 v7, vcc, v7, v8
	v_addc_co_u32_e32 v7, vcc, v9, v10, vcc
	v_addc_co_u32_e32 v8, vcc, 0, v12, vcc
	v_add_co_u32_e32 v6, vcc, v7, v6
	v_addc_co_u32_e32 v7, vcc, 0, v8, vcc
	v_add_co_u32_e32 v2, vcc, v2, v6
	v_addc_co_u32_e32 v5, vcc, v5, v7, vcc
	v_mul_lo_u32 v6, s0, v5
	v_mul_hi_u32 v7, s0, v2
	v_mul_lo_u32 v8, s1, v2
	v_mul_lo_u32 v9, s0, v2
	v_add_u32_e32 v6, v7, v6
	v_add_u32_e32 v6, v6, v8
	v_mul_lo_u32 v10, v2, v6
	v_mul_hi_u32 v11, v2, v9
	v_mul_hi_u32 v12, v2, v6
	;; [unrolled: 1-line block ×3, first 2 shown]
	v_mul_lo_u32 v9, v5, v9
	v_mul_hi_u32 v7, v5, v6
	v_add_co_u32_e32 v10, vcc, v11, v10
	v_addc_co_u32_e32 v11, vcc, 0, v12, vcc
	v_mul_lo_u32 v6, v5, v6
	v_add_co_u32_e32 v9, vcc, v10, v9
	v_addc_co_u32_e32 v8, vcc, v11, v8, vcc
	v_addc_co_u32_e32 v7, vcc, 0, v7, vcc
	v_add_co_u32_e32 v6, vcc, v8, v6
	v_addc_co_u32_e32 v7, vcc, 0, v7, vcc
	v_add_co_u32_e32 v2, vcc, v2, v6
	v_addc_co_u32_e32 v7, vcc, v5, v7, vcc
	v_mad_u64_u32 v[5:6], s[0:1], v3, v7, 0
	v_mul_hi_u32 v8, v3, v2
	v_add_co_u32_e32 v9, vcc, v8, v5
	v_addc_co_u32_e32 v10, vcc, 0, v6, vcc
	v_mad_u64_u32 v[5:6], s[0:1], v4, v2, 0
	v_mad_u64_u32 v[7:8], s[0:1], v4, v7, 0
	v_add_co_u32_e32 v2, vcc, v9, v5
	v_addc_co_u32_e32 v2, vcc, v10, v6, vcc
	v_addc_co_u32_e32 v5, vcc, 0, v8, vcc
	v_add_co_u32_e32 v2, vcc, v2, v7
	v_addc_co_u32_e32 v7, vcc, 0, v5, vcc
	v_mul_lo_u32 v8, s29, v2
	v_mul_lo_u32 v9, s28, v7
	v_mad_u64_u32 v[5:6], s[0:1], s28, v2, 0
	v_add3_u32 v6, v6, v9, v8
	v_sub_u32_e32 v8, v4, v6
	v_mov_b32_e32 v9, s29
	v_sub_co_u32_e32 v5, vcc, v3, v5
	v_subb_co_u32_e64 v8, s[0:1], v8, v9, vcc
	v_subrev_co_u32_e64 v9, s[0:1], s28, v5
	v_subbrev_co_u32_e64 v8, s[0:1], 0, v8, s[0:1]
	v_cmp_le_u32_e64 s[0:1], s29, v8
	v_cndmask_b32_e64 v10, 0, -1, s[0:1]
	v_cmp_le_u32_e64 s[0:1], s28, v9
	v_cndmask_b32_e64 v9, 0, -1, s[0:1]
	v_cmp_eq_u32_e64 s[0:1], s29, v8
	v_cndmask_b32_e64 v8, v10, v9, s[0:1]
	v_add_co_u32_e64 v9, s[0:1], 2, v2
	v_addc_co_u32_e64 v10, s[0:1], 0, v7, s[0:1]
	v_add_co_u32_e64 v11, s[0:1], 1, v2
	v_addc_co_u32_e64 v12, s[0:1], 0, v7, s[0:1]
	v_subb_co_u32_e32 v6, vcc, v4, v6, vcc
	v_cmp_ne_u32_e64 s[0:1], 0, v8
	v_cmp_le_u32_e32 vcc, s29, v6
	v_cndmask_b32_e64 v8, v12, v10, s[0:1]
	v_cndmask_b32_e64 v10, 0, -1, vcc
	v_cmp_le_u32_e32 vcc, s28, v5
	v_cndmask_b32_e64 v5, 0, -1, vcc
	v_cmp_eq_u32_e32 vcc, s29, v6
	v_cndmask_b32_e32 v5, v10, v5, vcc
	v_cmp_ne_u32_e32 vcc, 0, v5
	v_cndmask_b32_e64 v5, v11, v9, s[0:1]
	v_cndmask_b32_e32 v39, v7, v8, vcc
	v_cndmask_b32_e32 v38, v2, v5, vcc
.LBB0_4:                                ;   in Loop: Header=BB0_2 Depth=1
	s_andn2_saveexec_b64 s[0:1], s[30:31]
	s_cbranch_execz .LBB0_6
; %bb.5:                                ;   in Loop: Header=BB0_2 Depth=1
	v_cvt_f32_u32_e32 v2, s28
	s_sub_i32 s30, 0, s28
	v_mov_b32_e32 v39, v1
	v_rcp_iflag_f32_e32 v2, v2
	v_mul_f32_e32 v2, 0x4f7ffffe, v2
	v_cvt_u32_f32_e32 v2, v2
	v_mul_lo_u32 v5, s30, v2
	v_mul_hi_u32 v5, v2, v5
	v_add_u32_e32 v2, v2, v5
	v_mul_hi_u32 v2, v3, v2
	v_mul_lo_u32 v5, v2, s28
	v_add_u32_e32 v6, 1, v2
	v_sub_u32_e32 v5, v3, v5
	v_subrev_u32_e32 v7, s28, v5
	v_cmp_le_u32_e32 vcc, s28, v5
	v_cndmask_b32_e32 v5, v5, v7, vcc
	v_cndmask_b32_e32 v2, v2, v6, vcc
	v_add_u32_e32 v6, 1, v2
	v_cmp_le_u32_e32 vcc, s28, v5
	v_cndmask_b32_e32 v38, v2, v6, vcc
.LBB0_6:                                ;   in Loop: Header=BB0_2 Depth=1
	s_or_b64 exec, exec, s[0:1]
	v_mul_lo_u32 v2, v39, s28
	v_mul_lo_u32 v7, v38, s29
	v_mad_u64_u32 v[5:6], s[0:1], v38, s28, 0
	s_load_dwordx2 s[0:1], s[22:23], 0x0
	s_load_dwordx2 s[28:29], s[6:7], 0x0
	v_add3_u32 v2, v6, v7, v2
	v_sub_co_u32_e32 v3, vcc, v3, v5
	v_subb_co_u32_e32 v2, vcc, v4, v2, vcc
	s_waitcnt lgkmcnt(0)
	v_mul_lo_u32 v4, s0, v2
	v_mul_lo_u32 v5, s1, v3
	v_mad_u64_u32 v[50:51], s[0:1], s0, v3, v[50:51]
	v_mul_lo_u32 v2, s28, v2
	v_mul_lo_u32 v6, s29, v3
	v_mad_u64_u32 v[36:37], s[0:1], s28, v3, v[36:37]
	s_add_u32 s26, s26, 1
	s_addc_u32 s27, s27, 0
	s_add_u32 s6, s6, 8
	v_add3_u32 v37, v6, v37, v2
	s_addc_u32 s7, s7, 0
	v_mov_b32_e32 v2, s14
	s_add_u32 s22, s22, 8
	v_mov_b32_e32 v3, s15
	s_addc_u32 s23, s23, 0
	v_cmp_ge_u64_e32 vcc, s[26:27], v[2:3]
	s_add_u32 s24, s24, 8
	v_add3_u32 v51, v5, v51, v4
	s_addc_u32 s25, s25, 0
	s_cbranch_vccnz .LBB0_9
; %bb.7:                                ;   in Loop: Header=BB0_2 Depth=1
	v_mov_b32_e32 v3, v38
	v_mov_b32_e32 v4, v39
	s_branch .LBB0_2
.LBB0_8:
	v_mov_b32_e32 v36, v50
	v_mov_b32_e32 v39, v4
	;; [unrolled: 1-line block ×4, first 2 shown]
.LBB0_9:
	s_load_dwordx2 s[0:1], s[4:5], 0x28
	s_lshl_b64 s[14:15], s[14:15], 3
	s_add_u32 s4, s18, s14
	s_addc_u32 s5, s19, s15
                                        ; implicit-def: $vgpr69
                                        ; implicit-def: $vgpr70
                                        ; implicit-def: $vgpr72
                                        ; implicit-def: $vgpr71
                                        ; implicit-def: $vgpr73
	s_waitcnt lgkmcnt(0)
	v_cmp_gt_u64_e32 vcc, s[0:1], v[38:39]
	v_cmp_le_u64_e64 s[0:1], s[0:1], v[38:39]
	s_and_saveexec_b64 s[6:7], s[0:1]
	s_xor_b64 s[0:1], exec, s[6:7]
; %bb.10:
	s_mov_b32 s6, 0x2222223
	v_mul_hi_u32 v1, v0, s6
                                        ; implicit-def: $vgpr50_vgpr51
	v_mul_u32_u24_e32 v1, 0x78, v1
	v_sub_u32_e32 v69, v0, v1
	v_add_u32_e32 v70, 0x78, v69
	v_add_u32_e32 v72, 0xf0, v69
	;; [unrolled: 1-line block ×4, first 2 shown]
                                        ; implicit-def: $vgpr0
; %bb.11:
	s_or_saveexec_b64 s[6:7], s[0:1]
                                        ; implicit-def: $vgpr9
                                        ; implicit-def: $vgpr13
                                        ; implicit-def: $vgpr5
                                        ; implicit-def: $vgpr15
                                        ; implicit-def: $vgpr7
                                        ; implicit-def: $vgpr19
                                        ; implicit-def: $vgpr60
                                        ; implicit-def: $vgpr17
                                        ; implicit-def: $vgpr3
                                        ; implicit-def: $vgpr1
                                        ; implicit-def: $vgpr27
                                        ; implicit-def: $vgpr33
                                        ; implicit-def: $vgpr29
                                        ; implicit-def: $vgpr35
                                        ; implicit-def: $vgpr31
                                        ; implicit-def: $vgpr25
                                        ; implicit-def: $vgpr62
                                        ; implicit-def: $vgpr23
                                        ; implicit-def: $vgpr21
                                        ; implicit-def: $vgpr11
                                        ; implicit-def: $vgpr43
                                        ; implicit-def: $vgpr49
                                        ; implicit-def: $vgpr45
                                        ; implicit-def: $vgpr54
                                        ; implicit-def: $vgpr47
                                        ; implicit-def: $vgpr58
                                        ; implicit-def: $vgpr64
                                        ; implicit-def: $vgpr56
                                        ; implicit-def: $vgpr41
                                        ; implicit-def: $vgpr52
	s_xor_b64 exec, exec, s[6:7]
	s_cbranch_execz .LBB0_13
; %bb.12:
	s_add_u32 s0, s16, s14
	s_mov_b32 s14, 0x2222223
	s_addc_u32 s1, s17, s15
	v_mul_hi_u32 v1, v0, s14
	s_load_dwordx2 s[0:1], s[0:1], 0x0
	v_mul_u32_u24_e32 v1, 0x78, v1
	v_sub_u32_e32 v69, v0, v1
	s_waitcnt lgkmcnt(0)
	v_mul_lo_u32 v6, s1, v38
	v_mad_u64_u32 v[0:1], s[14:15], s20, v69, 0
	v_mul_lo_u32 v7, s0, v39
	v_mad_u64_u32 v[2:3], s[0:1], s0, v38, 0
	v_add_u32_e32 v71, 0x168, v69
	v_add_u32_e32 v8, 0x2d0, v69
	v_mad_u64_u32 v[4:5], s[0:1], s21, v69, v[1:2]
	v_add3_u32 v3, v3, v7, v6
	v_lshlrev_b64 v[2:3], 3, v[2:3]
	v_mov_b32_e32 v1, v4
	v_mov_b32_e32 v4, s9
	v_add_co_u32_e64 v6, s[0:1], s8, v2
	v_addc_co_u32_e64 v7, s[0:1], v4, v3, s[0:1]
	v_mad_u64_u32 v[4:5], s[0:1], s20, v71, 0
	v_lshlrev_b64 v[2:3], 3, v[50:51]
	v_lshlrev_b64 v[0:1], 3, v[0:1]
	v_add_co_u32_e64 v2, s[0:1], v6, v2
	v_addc_co_u32_e64 v3, s[0:1], v7, v3, s[0:1]
	v_mad_u64_u32 v[5:6], s[0:1], s21, v71, v[5:6]
	v_mad_u64_u32 v[6:7], s[0:1], s20, v8, 0
	v_add_co_u32_e64 v0, s[0:1], v2, v0
	v_addc_co_u32_e64 v1, s[0:1], v3, v1, s[0:1]
	v_mad_u64_u32 v[7:8], s[0:1], s21, v8, v[7:8]
	v_add_u32_e32 v10, 0x438, v69
	v_mad_u64_u32 v[8:9], s[0:1], s20, v10, 0
	v_lshlrev_b64 v[4:5], 3, v[4:5]
	v_add_u32_e32 v12, 0x5a0, v69
	v_add_co_u32_e64 v4, s[0:1], v2, v4
	v_addc_co_u32_e64 v5, s[0:1], v3, v5, s[0:1]
	v_mad_u64_u32 v[9:10], s[0:1], s21, v10, v[9:10]
	v_mad_u64_u32 v[10:11], s[0:1], s20, v12, 0
	v_lshlrev_b64 v[6:7], 3, v[6:7]
	v_add_u32_e32 v14, 0x708, v69
	v_add_co_u32_e64 v6, s[0:1], v2, v6
	v_addc_co_u32_e64 v7, s[0:1], v3, v7, s[0:1]
	v_mad_u64_u32 v[11:12], s[0:1], s21, v12, v[11:12]
	;; [unrolled: 6-line block ×3, first 2 shown]
	v_mad_u64_u32 v[14:15], s[0:1], s20, v18, 0
	v_lshlrev_b64 v[10:11], 3, v[10:11]
	v_add_u32_e32 v70, 0x78, v69
	v_add_co_u32_e64 v16, s[0:1], v2, v10
	v_addc_co_u32_e64 v17, s[0:1], v3, v11, s[0:1]
	v_lshlrev_b64 v[10:11], 3, v[12:13]
	v_mov_b32_e32 v12, v15
	v_mad_u64_u32 v[12:13], s[0:1], s21, v18, v[12:13]
	v_add_u32_e32 v13, 0x9d8, v69
	v_mad_u64_u32 v[18:19], s[0:1], s20, v13, 0
	v_add_co_u32_e64 v26, s[0:1], v2, v10
	v_mov_b32_e32 v15, v12
	v_mov_b32_e32 v12, v19
	v_addc_co_u32_e64 v27, s[0:1], v3, v11, s[0:1]
	v_lshlrev_b64 v[10:11], 3, v[14:15]
	v_mad_u64_u32 v[12:13], s[0:1], s21, v13, v[12:13]
	v_add_u32_e32 v15, 0xb40, v69
	v_mad_u64_u32 v[13:14], s[0:1], s20, v15, 0
	v_add_co_u32_e64 v28, s[0:1], v2, v10
	v_mov_b32_e32 v19, v12
	v_mov_b32_e32 v12, v14
	v_addc_co_u32_e64 v29, s[0:1], v3, v11, s[0:1]
	v_mad_u64_u32 v[14:15], s[0:1], s21, v15, v[12:13]
	v_add_u32_e32 v15, 0xca8, v69
	v_lshlrev_b64 v[10:11], 3, v[18:19]
	v_mad_u64_u32 v[18:19], s[0:1], s20, v15, 0
	v_add_co_u32_e64 v30, s[0:1], v2, v10
	v_mov_b32_e32 v12, v19
	v_addc_co_u32_e64 v31, s[0:1], v3, v11, s[0:1]
	v_lshlrev_b64 v[10:11], 3, v[13:14]
	v_mad_u64_u32 v[12:13], s[0:1], s21, v15, v[12:13]
	v_mad_u64_u32 v[13:14], s[0:1], s20, v70, 0
	v_add_co_u32_e64 v32, s[0:1], v2, v10
	v_mov_b32_e32 v19, v12
	v_add_u32_e32 v73, 0x1e0, v69
	v_addc_co_u32_e64 v33, s[0:1], v3, v11, s[0:1]
	v_lshlrev_b64 v[10:11], 3, v[18:19]
	v_mov_b32_e32 v12, v14
	v_mad_u64_u32 v[18:19], s[0:1], s20, v73, 0
	v_mad_u64_u32 v[14:15], s[0:1], s21, v70, v[12:13]
	v_add_co_u32_e64 v34, s[0:1], v2, v10
	v_mov_b32_e32 v12, v19
	v_addc_co_u32_e64 v35, s[0:1], v3, v11, s[0:1]
	v_lshlrev_b64 v[10:11], 3, v[13:14]
	v_mad_u64_u32 v[12:13], s[0:1], s21, v73, v[12:13]
	v_add_u32_e32 v15, 0x348, v69
	v_mad_u64_u32 v[13:14], s[0:1], s20, v15, 0
	v_add_co_u32_e64 v59, s[0:1], v2, v10
	v_mov_b32_e32 v19, v12
	v_mov_b32_e32 v12, v14
	v_addc_co_u32_e64 v60, s[0:1], v3, v11, s[0:1]
	v_mad_u64_u32 v[14:15], s[0:1], s21, v15, v[12:13]
	v_add_u32_e32 v15, 0x4b0, v69
	v_lshlrev_b64 v[10:11], 3, v[18:19]
	v_mad_u64_u32 v[18:19], s[0:1], s20, v15, 0
	v_add_co_u32_e64 v65, s[0:1], v2, v10
	v_mov_b32_e32 v12, v19
	v_addc_co_u32_e64 v66, s[0:1], v3, v11, s[0:1]
	v_lshlrev_b64 v[10:11], 3, v[13:14]
	v_mad_u64_u32 v[12:13], s[0:1], s21, v15, v[12:13]
	v_add_u32_e32 v15, 0x618, v69
	v_mad_u64_u32 v[13:14], s[0:1], s20, v15, 0
	v_add_co_u32_e64 v67, s[0:1], v2, v10
	v_mov_b32_e32 v19, v12
	v_mov_b32_e32 v12, v14
	v_addc_co_u32_e64 v68, s[0:1], v3, v11, s[0:1]
	v_mad_u64_u32 v[14:15], s[0:1], s21, v15, v[12:13]
	v_or_b32_e32 v15, 0x780, v69
	v_lshlrev_b64 v[10:11], 3, v[18:19]
	v_mad_u64_u32 v[18:19], s[0:1], s20, v15, 0
	v_add_co_u32_e64 v74, s[0:1], v2, v10
	v_mov_b32_e32 v12, v19
	v_addc_co_u32_e64 v75, s[0:1], v3, v11, s[0:1]
	v_lshlrev_b64 v[10:11], 3, v[13:14]
	v_mad_u64_u32 v[12:13], s[0:1], s21, v15, v[12:13]
	v_add_u32_e32 v15, 0x8e8, v69
	v_mad_u64_u32 v[13:14], s[0:1], s20, v15, 0
	v_add_co_u32_e64 v76, s[0:1], v2, v10
	v_mov_b32_e32 v19, v12
	v_mov_b32_e32 v12, v14
	v_addc_co_u32_e64 v77, s[0:1], v3, v11, s[0:1]
	v_mad_u64_u32 v[14:15], s[0:1], s21, v15, v[12:13]
	v_add_u32_e32 v15, 0xa50, v69
	v_lshlrev_b64 v[10:11], 3, v[18:19]
	v_mad_u64_u32 v[18:19], s[0:1], s20, v15, 0
	v_add_co_u32_e64 v78, s[0:1], v2, v10
	v_mov_b32_e32 v12, v19
	v_addc_co_u32_e64 v79, s[0:1], v3, v11, s[0:1]
	v_lshlrev_b64 v[10:11], 3, v[13:14]
	v_mad_u64_u32 v[12:13], s[0:1], s21, v15, v[12:13]
	v_add_u32_e32 v15, 0xbb8, v69
	v_mad_u64_u32 v[13:14], s[0:1], s20, v15, 0
	v_add_co_u32_e64 v80, s[0:1], v2, v10
	v_mov_b32_e32 v19, v12
	v_mov_b32_e32 v12, v14
	v_addc_co_u32_e64 v81, s[0:1], v3, v11, s[0:1]
	v_mad_u64_u32 v[14:15], s[0:1], s21, v15, v[12:13]
	v_add_u32_e32 v15, 0xd20, v69
	;; [unrolled: 15-line block ×7, first 2 shown]
	v_lshlrev_b64 v[10:11], 3, v[18:19]
	v_mad_u64_u32 v[18:19], s[0:1], s20, v15, 0
	v_add_co_u32_e64 v102, s[0:1], v2, v10
	v_mov_b32_e32 v12, v19
	v_addc_co_u32_e64 v103, s[0:1], v3, v11, s[0:1]
	v_lshlrev_b64 v[10:11], 3, v[13:14]
	v_mad_u64_u32 v[12:13], s[0:1], s21, v15, v[12:13]
	v_add_co_u32_e64 v104, s[0:1], v2, v10
	v_mov_b32_e32 v19, v12
	v_addc_co_u32_e64 v105, s[0:1], v3, v11, s[0:1]
	v_lshlrev_b64 v[10:11], 3, v[18:19]
	v_add_co_u32_e64 v106, s[0:1], v2, v10
	v_addc_co_u32_e64 v107, s[0:1], v3, v11, s[0:1]
	global_load_dwordx2 v[51:52], v[0:1], off
	global_load_dwordx2 v[40:41], v[4:5], off
	;; [unrolled: 1-line block ×15, first 2 shown]
                                        ; kill: killed $vgpr30 killed $vgpr31
                                        ; kill: killed $vgpr6 killed $vgpr7
                                        ; kill: killed $vgpr65 killed $vgpr66
                                        ; kill: killed $vgpr34 killed $vgpr35
                                        ; kill: killed $vgpr16 killed $vgpr17
                                        ; kill: killed $vgpr0 killed $vgpr1
                                        ; kill: killed $vgpr74 killed $vgpr75
                                        ; kill: killed $vgpr28 killed $vgpr29
                                        ; kill: killed $vgpr4 killed $vgpr5
                                        ; kill: killed $vgpr32 killed $vgpr33
                                        ; kill: killed $vgpr8 killed $vgpr9
                                        ; kill: killed $vgpr67 killed $vgpr68
                                        ; kill: killed $vgpr26 killed $vgpr27
                                        ; kill: killed $vgpr76 killed $vgpr77
                                        ; kill: killed $vgpr59 killed $vgpr60
	global_load_dwordx2 v[30:31], v[78:79], off
	global_load_dwordx2 v[34:35], v[80:81], off
	;; [unrolled: 1-line block ×15, first 2 shown]
.LBB0_13:
	s_or_b64 exec, exec, s[6:7]
	s_waitcnt vmcnt(23)
	v_add_f32_e32 v50, v53, v57
	v_fma_f32 v66, -0.5, v50, v51
	v_sub_f32_e32 v50, v55, v57
	s_waitcnt vmcnt(21)
	v_sub_f32_e32 v65, v48, v53
	v_add_f32_e32 v76, v65, v50
	v_add_f32_e32 v50, v48, v55
	;; [unrolled: 1-line block ×3, first 2 shown]
	v_fmac_f32_e32 v51, -0.5, v50
	v_sub_f32_e32 v75, v58, v54
	v_mov_b32_e32 v77, v51
	v_sub_f32_e32 v74, v56, v49
	v_fmac_f32_e32 v77, 0x3f737871, v75
	v_sub_f32_e32 v50, v57, v55
	v_sub_f32_e32 v65, v53, v48
	v_fmac_f32_e32 v51, 0xbf737871, v75
	v_fmac_f32_e32 v77, 0xbf167918, v74
	v_add_f32_e32 v50, v65, v50
	v_fmac_f32_e32 v51, 0x3f167918, v74
	v_fmac_f32_e32 v77, 0x3e9e377a, v50
	;; [unrolled: 1-line block ×3, first 2 shown]
	v_sub_f32_e32 v50, v63, v46
	s_waitcnt vmcnt(20)
	v_sub_f32_e32 v65, v42, v44
	v_add_f32_e32 v78, v65, v50
	v_add_f32_e32 v50, v44, v46
	v_fma_f32 v67, -0.5, v50, v40
	v_add_f32_e32 v50, v42, v63
	v_add_f32_e32 v84, v63, v40
	v_fmac_f32_e32 v40, -0.5, v50
	v_sub_f32_e32 v50, v46, v63
	v_sub_f32_e32 v65, v44, v42
	v_add_f32_e32 v65, v65, v50
	v_sub_f32_e32 v79, v47, v45
	v_mov_b32_e32 v50, v40
	v_fmac_f32_e32 v50, 0x3f737871, v79
	v_sub_f32_e32 v80, v64, v43
	v_fmac_f32_e32 v40, 0xbf737871, v79
	v_fmac_f32_e32 v50, 0xbf167918, v80
	v_fmac_f32_e32 v40, 0x3f167918, v80
	v_fmac_f32_e32 v50, 0x3e9e377a, v65
	v_fmac_f32_e32 v40, 0x3e9e377a, v65
	v_sub_f32_e32 v65, v64, v47
	v_sub_f32_e32 v68, v43, v45
	v_add_f32_e32 v81, v68, v65
	v_add_f32_e32 v65, v45, v47
	;; [unrolled: 1-line block ×3, first 2 shown]
	v_fma_f32 v68, -0.5, v65, v41
	v_add_f32_e32 v65, v64, v41
	v_fmac_f32_e32 v41, -0.5, v82
	v_sub_f32_e32 v82, v63, v42
	v_sub_f32_e32 v63, v47, v64
	;; [unrolled: 1-line block ×3, first 2 shown]
	v_add_f32_e32 v85, v64, v63
	v_sub_f32_e32 v64, v46, v44
	v_add_f32_e32 v46, v46, v84
	v_add_f32_e32 v44, v44, v46
	v_mov_b32_e32 v63, v41
	v_add_f32_e32 v46, v42, v44
	v_mov_b32_e32 v44, v68
	v_fmac_f32_e32 v63, 0xbf737871, v64
	v_fmac_f32_e32 v41, 0x3f737871, v64
	v_mov_b32_e32 v42, v67
	v_fmac_f32_e32 v44, 0x3f737871, v82
	v_fmac_f32_e32 v63, 0x3f167918, v82
	v_fmac_f32_e32 v41, 0xbf167918, v82
	v_mov_b32_e32 v88, v66
	v_fmac_f32_e32 v42, 0xbf737871, v80
	v_fmac_f32_e32 v44, 0x3f167918, v64
	;; [unrolled: 1-line block ×5, first 2 shown]
	v_add_f32_e32 v83, v57, v83
	v_fmac_f32_e32 v88, 0xbf737871, v74
	v_fmac_f32_e32 v42, 0xbf167918, v79
	;; [unrolled: 1-line block ×5, first 2 shown]
	v_add_f32_e32 v83, v53, v83
	v_fmac_f32_e32 v88, 0xbf167918, v75
	v_fmac_f32_e32 v42, 0x3e9e377a, v78
	v_mul_f32_e32 v89, 0xbf167918, v44
	v_mul_f32_e32 v90, 0xbf737871, v63
	;; [unrolled: 1-line block ×3, first 2 shown]
	v_fmac_f32_e32 v66, 0x3f737871, v74
	v_fmac_f32_e32 v67, 0x3f167918, v79
	;; [unrolled: 1-line block ×3, first 2 shown]
	v_add_f32_e32 v87, v48, v83
	v_fmac_f32_e32 v88, 0x3e9e377a, v76
	v_fmac_f32_e32 v89, 0x3f4f1bbd, v42
	;; [unrolled: 1-line block ×4, first 2 shown]
	v_mul_u32_u24_e32 v92, 10, v69
	v_fmac_f32_e32 v66, 0x3f167918, v75
	v_fmac_f32_e32 v67, 0x3e9e377a, v78
	v_mul_f32_e32 v64, 0xbf167918, v68
	v_add_f32_e32 v83, v46, v87
	v_add_f32_e32 v84, v88, v89
	;; [unrolled: 1-line block ×4, first 2 shown]
	v_lshl_add_u32 v96, v92, 2, 0
	v_fmac_f32_e32 v66, 0x3e9e377a, v76
	v_fmac_f32_e32 v64, 0xbf4f1bbd, v67
	ds_write2_b64 v96, v[83:84], v[85:86] offset1:1
	v_sub_f32_e32 v83, v88, v89
	v_sub_f32_e32 v84, v77, v90
	;; [unrolled: 1-line block ×3, first 2 shown]
	v_add_f32_e32 v74, v66, v64
	ds_write2_b64 v96, v[74:75], v[83:84] offset0:2 offset1:3
	v_sub_f32_e32 v74, v51, v91
	s_waitcnt vmcnt(15)
	v_sub_f32_e32 v46, v22, v24
	s_waitcnt vmcnt(11)
	v_sub_f32_e32 v51, v32, v34
	v_sub_f32_e32 v75, v66, v64
	v_add_f32_e32 v46, v51, v46
	v_add_f32_e32 v51, v34, v24
	v_add_f32_e32 v66, v32, v22
	v_fma_f32 v51, -0.5, v51, v10
	v_add_f32_e32 v64, v22, v10
	v_fmac_f32_e32 v10, -0.5, v66
	v_sub_f32_e32 v77, v25, v35
	v_mov_b32_e32 v78, v10
	ds_write_b64 v96, v[74:75] offset:32
	v_sub_f32_e32 v66, v24, v22
	v_sub_f32_e32 v74, v34, v32
	v_fmac_f32_e32 v78, 0x3f737871, v77
	v_sub_f32_e32 v79, v23, v33
	v_fmac_f32_e32 v10, 0xbf737871, v77
	v_add_f32_e32 v66, v74, v66
	v_fmac_f32_e32 v78, 0xbf167918, v79
	v_fmac_f32_e32 v10, 0x3f167918, v79
	;; [unrolled: 1-line block ×4, first 2 shown]
	v_sub_f32_e32 v66, v61, v30
	s_waitcnt vmcnt(10)
	v_sub_f32_e32 v74, v26, v28
	v_add_f32_e32 v66, v74, v66
	v_add_f32_e32 v74, v28, v30
	;; [unrolled: 1-line block ×3, first 2 shown]
	v_fma_f32 v97, -0.5, v74, v20
	v_add_f32_e32 v74, v61, v20
	v_fmac_f32_e32 v20, -0.5, v75
	v_sub_f32_e32 v80, v31, v29
	v_mov_b32_e32 v102, v20
	v_sub_f32_e32 v75, v30, v61
	v_sub_f32_e32 v76, v28, v26
	v_fmac_f32_e32 v102, 0x3f737871, v80
	v_sub_f32_e32 v81, v62, v27
	v_fmac_f32_e32 v20, 0xbf737871, v80
	v_add_f32_e32 v75, v76, v75
	v_fmac_f32_e32 v102, 0xbf167918, v81
	v_fmac_f32_e32 v20, 0x3f167918, v81
	;; [unrolled: 1-line block ×4, first 2 shown]
	v_sub_f32_e32 v75, v62, v31
	v_sub_f32_e32 v76, v27, v29
	v_add_f32_e32 v82, v76, v75
	v_add_f32_e32 v75, v29, v31
	v_fma_f32 v103, -0.5, v75, v21
	v_add_f32_e32 v75, v27, v62
	v_add_f32_e32 v105, v62, v21
	v_fmac_f32_e32 v21, -0.5, v75
	v_sub_f32_e32 v84, v30, v28
	v_add_f32_e32 v30, v30, v74
	v_sub_f32_e32 v83, v61, v26
	v_mov_b32_e32 v106, v21
	v_add_f32_e32 v28, v28, v30
	v_mov_b32_e32 v30, v103
	v_sub_f32_e32 v61, v31, v62
	v_sub_f32_e32 v62, v29, v27
	v_fmac_f32_e32 v106, 0xbf737871, v84
	v_fmac_f32_e32 v21, 0x3f737871, v84
	v_add_f32_e32 v26, v26, v28
	v_mov_b32_e32 v28, v97
	v_fmac_f32_e32 v30, 0x3f737871, v83
	v_add_f32_e32 v61, v62, v61
	v_fmac_f32_e32 v106, 0x3f167918, v83
	v_fmac_f32_e32 v21, 0xbf167918, v83
	v_mov_b32_e32 v85, v51
	v_fmac_f32_e32 v28, 0xbf737871, v81
	v_fmac_f32_e32 v30, 0x3f167918, v84
	;; [unrolled: 1-line block ×5, first 2 shown]
	v_add_f32_e32 v61, v24, v64
	v_fmac_f32_e32 v85, 0xbf737871, v79
	v_fmac_f32_e32 v28, 0xbf167918, v80
	;; [unrolled: 1-line block ×6, first 2 shown]
	v_add_f32_e32 v61, v34, v61
	v_fmac_f32_e32 v85, 0xbf167918, v77
	v_fmac_f32_e32 v28, 0x3e9e377a, v66
	v_mul_f32_e32 v86, 0xbf167918, v30
	v_mul_f32_e32 v87, 0xbf737871, v106
	;; [unrolled: 1-line block ×3, first 2 shown]
	v_fmac_f32_e32 v51, 0x3f167918, v77
	v_fmac_f32_e32 v97, 0x3f167918, v80
	;; [unrolled: 1-line block ×3, first 2 shown]
	v_add_f32_e32 v64, v32, v61
	v_fmac_f32_e32 v85, 0x3e9e377a, v46
	v_fmac_f32_e32 v86, 0x3f4f1bbd, v28
	;; [unrolled: 1-line block ×4, first 2 shown]
	v_mul_i32_i24_e32 v74, 10, v70
	v_fmac_f32_e32 v51, 0x3e9e377a, v46
	v_fmac_f32_e32 v97, 0x3e9e377a, v66
	v_mul_f32_e32 v46, 0xbf167918, v103
	v_add_f32_e32 v61, v26, v64
	v_add_f32_e32 v62, v85, v86
	;; [unrolled: 1-line block ×4, first 2 shown]
	v_lshl_add_u32 v74, v74, 2, 0
	v_fmac_f32_e32 v46, 0xbf4f1bbd, v97
	ds_write2_b64 v74, v[61:62], v[75:76] offset1:1
	v_sub_f32_e32 v61, v85, v86
	v_sub_f32_e32 v62, v78, v87
	;; [unrolled: 1-line block ×3, first 2 shown]
	v_add_f32_e32 v75, v51, v46
	ds_write2_b64 v74, v[75:76], v[61:62] offset0:2 offset1:3
	v_sub_f32_e32 v61, v10, v88
	s_waitcnt vmcnt(5)
	v_sub_f32_e32 v10, v16, v18
	s_waitcnt vmcnt(1)
	v_sub_f32_e32 v26, v12, v14
	v_sub_f32_e32 v62, v51, v46
	v_add_f32_e32 v10, v26, v10
	v_add_f32_e32 v26, v14, v18
	;; [unrolled: 1-line block ×3, first 2 shown]
	v_fma_f32 v26, -0.5, v26, v0
	v_add_f32_e32 v46, v16, v0
	v_fmac_f32_e32 v0, -0.5, v51
	v_sub_f32_e32 v64, v19, v15
	v_mov_b32_e32 v66, v0
	ds_write_b64 v74, v[61:62] offset:32
	v_sub_f32_e32 v51, v18, v16
	v_sub_f32_e32 v61, v14, v12
	v_fmac_f32_e32 v66, 0x3f737871, v64
	v_sub_f32_e32 v76, v17, v13
	v_fmac_f32_e32 v0, 0xbf737871, v64
	v_add_f32_e32 v51, v61, v51
	v_fmac_f32_e32 v66, 0xbf167918, v76
	v_fmac_f32_e32 v0, 0x3f167918, v76
	;; [unrolled: 1-line block ×4, first 2 shown]
	v_sub_f32_e32 v51, v59, v6
	s_waitcnt vmcnt(0)
	v_sub_f32_e32 v61, v8, v4
	v_add_f32_e32 v51, v61, v51
	v_add_f32_e32 v61, v4, v6
	;; [unrolled: 1-line block ×3, first 2 shown]
	v_fma_f32 v107, -0.5, v61, v2
	v_add_f32_e32 v61, v59, v2
	v_fmac_f32_e32 v2, -0.5, v62
	v_sub_f32_e32 v77, v7, v5
	v_mov_b32_e32 v108, v2
	v_sub_f32_e32 v62, v6, v59
	v_sub_f32_e32 v75, v4, v8
	v_fmac_f32_e32 v108, 0x3f737871, v77
	v_sub_f32_e32 v78, v60, v9
	v_fmac_f32_e32 v2, 0xbf737871, v77
	v_add_f32_e32 v62, v75, v62
	v_fmac_f32_e32 v108, 0xbf167918, v78
	v_fmac_f32_e32 v2, 0x3f167918, v78
	;; [unrolled: 1-line block ×4, first 2 shown]
	v_sub_f32_e32 v62, v60, v7
	v_sub_f32_e32 v75, v9, v5
	v_add_f32_e32 v79, v75, v62
	v_add_f32_e32 v62, v5, v7
	v_fma_f32 v109, -0.5, v62, v3
	v_add_f32_e32 v62, v9, v60
	v_sub_f32_e32 v81, v6, v4
	v_add_f32_e32 v6, v6, v61
	v_add_f32_e32 v110, v60, v3
	v_fmac_f32_e32 v3, -0.5, v62
	v_add_f32_e32 v4, v4, v6
	v_sub_f32_e32 v80, v59, v8
	v_mov_b32_e32 v111, v3
	v_add_f32_e32 v4, v8, v4
	v_mov_b32_e32 v8, v109
	v_sub_f32_e32 v59, v7, v60
	v_sub_f32_e32 v60, v5, v9
	v_fmac_f32_e32 v111, 0xbf737871, v81
	v_fmac_f32_e32 v3, 0x3f737871, v81
	v_mov_b32_e32 v6, v107
	v_fmac_f32_e32 v8, 0x3f737871, v80
	v_add_f32_e32 v59, v60, v59
	v_fmac_f32_e32 v111, 0x3f167918, v80
	v_fmac_f32_e32 v3, 0xbf167918, v80
	v_mov_b32_e32 v82, v26
	v_fmac_f32_e32 v6, 0xbf737871, v78
	v_fmac_f32_e32 v8, 0x3f167918, v81
	;; [unrolled: 1-line block ×4, first 2 shown]
	v_add_f32_e32 v46, v18, v46
	v_fmac_f32_e32 v82, 0xbf737871, v76
	v_fmac_f32_e32 v6, 0xbf167918, v77
	;; [unrolled: 1-line block ×4, first 2 shown]
	v_add_f32_e32 v46, v14, v46
	v_fmac_f32_e32 v82, 0xbf167918, v64
	v_fmac_f32_e32 v6, 0x3e9e377a, v51
	v_mul_f32_e32 v83, 0xbf167918, v8
	v_mul_f32_e32 v84, 0xbf737871, v111
	;; [unrolled: 1-line block ×3, first 2 shown]
	v_fmac_f32_e32 v26, 0x3f737871, v76
	v_fmac_f32_e32 v107, 0x3f737871, v78
	;; [unrolled: 1-line block ×3, first 2 shown]
	v_add_f32_e32 v46, v12, v46
	v_fmac_f32_e32 v82, 0x3e9e377a, v10
	v_fmac_f32_e32 v83, 0x3f4f1bbd, v6
	;; [unrolled: 1-line block ×4, first 2 shown]
	v_mul_i32_i24_e32 v75, 10, v72
	v_fmac_f32_e32 v26, 0x3f167918, v64
	v_fmac_f32_e32 v107, 0x3f167918, v77
	;; [unrolled: 1-line block ×3, first 2 shown]
	v_add_f32_e32 v59, v4, v46
	v_add_f32_e32 v60, v82, v83
	;; [unrolled: 1-line block ×4, first 2 shown]
	v_lshl_add_u32 v75, v75, 2, 0
	v_fmac_f32_e32 v26, 0x3e9e377a, v10
	v_fmac_f32_e32 v107, 0x3e9e377a, v51
	v_mul_f32_e32 v10, 0xbf167918, v109
	ds_write2_b64 v75, v[59:60], v[61:62] offset1:1
	v_fmac_f32_e32 v10, 0xbf4f1bbd, v107
	v_sub_f32_e32 v62, v46, v4
	v_add_f32_e32 v46, v54, v58
	v_sub_f32_e32 v113, v55, v48
	v_add_f32_e32 v48, v49, v56
	v_add_f32_e32 v61, v26, v10
	;; [unrolled: 1-line block ×3, first 2 shown]
	v_mul_f32_e32 v115, 0xbe9e377a, v41
	v_sub_f32_e32 v41, v26, v10
	v_fma_f32 v10, -0.5, v46, v52
	v_fmac_f32_e32 v52, -0.5, v48
	v_add_f32_e32 v4, v58, v4
	v_sub_f32_e32 v112, v57, v53
	v_mov_b32_e32 v116, v52
	v_sub_f32_e32 v53, v58, v56
	v_add_f32_e32 v4, v54, v4
	v_sub_f32_e32 v55, v49, v54
	v_sub_f32_e32 v54, v54, v49
	v_fmac_f32_e32 v116, 0xbf737871, v112
	v_fmac_f32_e32 v52, 0x3f737871, v112
	v_mov_b32_e32 v118, v10
	v_sub_f32_e32 v51, v56, v58
	v_add_f32_e32 v47, v47, v65
	v_add_f32_e32 v26, v54, v53
	v_fmac_f32_e32 v116, 0x3f167918, v113
	v_fmac_f32_e32 v52, 0xbf167918, v113
	v_fmac_f32_e32 v118, 0x3f737871, v113
	v_fmac_f32_e32 v10, 0xbf737871, v113
	v_add_f32_e32 v45, v45, v47
	v_fmac_f32_e32 v115, 0x3f737871, v40
	v_sub_f32_e32 v40, v0, v85
	v_add_f32_e32 v0, v55, v51
	v_fmac_f32_e32 v116, 0x3e9e377a, v26
	v_fmac_f32_e32 v52, 0x3e9e377a, v26
	v_mul_f32_e32 v26, 0x3f167918, v42
	v_mul_f32_e32 v117, 0x3f737871, v50
	v_fmac_f32_e32 v118, 0x3f167918, v112
	v_fmac_f32_e32 v10, 0xbf167918, v112
	v_add_f32_e32 v4, v49, v4
	v_add_f32_e32 v114, v43, v45
	v_fmac_f32_e32 v26, 0x3f4f1bbd, v44
	v_fmac_f32_e32 v117, 0x3e9e377a, v63
	;; [unrolled: 1-line block ×3, first 2 shown]
	s_movk_i32 s0, 0xffdc
	v_fmac_f32_e32 v10, 0x3e9e377a, v0
	v_mul_f32_e32 v0, 0xbf4f1bbd, v68
	v_sub_f32_e32 v59, v82, v83
	v_sub_f32_e32 v60, v66, v84
	v_add_f32_e32 v98, v114, v4
	v_add_f32_e32 v99, v118, v26
	;; [unrolled: 1-line block ×4, first 2 shown]
	v_mad_i32_i24 v77, v69, s0, v96
	v_fmac_f32_e32 v0, 0x3f167918, v67
	ds_write2_b64 v75, v[61:62], v[59:60] offset0:2 offset1:3
	ds_write_b64 v75, v[40:41] offset:32
	s_load_dwordx2 s[4:5], s[4:5], 0x0
	s_waitcnt lgkmcnt(0)
	s_barrier
	v_lshl_add_u32 v78, v71, 2, 0
	v_add_u32_e32 v104, 0xa00, v77
	v_add_u32_e32 v93, 0xe00, v77
	;; [unrolled: 1-line block ×8, first 2 shown]
	v_mad_i32_i24 v79, v70, s0, v74
	v_add_u32_e32 v94, 0x600, v77
	v_add_u32_e32 v92, 0x1200, v77
	;; [unrolled: 1-line block ×5, first 2 shown]
	v_mad_i32_i24 v80, v72, s0, v75
	ds_read_b32 v83, v77
	ds_read_b32 v95, v78
	;; [unrolled: 1-line block ×4, first 2 shown]
	ds_read2_b32 v[63:64], v104 offset0:80 offset1:200
	ds_read2_b32 v[61:62], v93 offset0:64 offset1:184
	;; [unrolled: 1-line block ×13, first 2 shown]
	s_waitcnt lgkmcnt(0)
	s_barrier
	ds_write2_b64 v96, v[98:99], v[100:101] offset1:1
	v_sub_f32_e32 v98, v118, v26
	v_sub_f32_e32 v99, v116, v117
	;; [unrolled: 1-line block ×3, first 2 shown]
	v_add_f32_e32 v67, v10, v0
	v_add_f32_e32 v31, v31, v105
	ds_write2_b64 v96, v[67:68], v[98:99] offset0:2 offset1:3
	v_sub_f32_e32 v68, v10, v0
	v_add_f32_e32 v0, v23, v11
	v_add_f32_e32 v4, v35, v25
	v_sub_f32_e32 v26, v22, v32
	v_add_f32_e32 v22, v33, v23
	v_add_f32_e32 v29, v29, v31
	;; [unrolled: 1-line block ×3, first 2 shown]
	v_sub_f32_e32 v10, v24, v34
	v_sub_f32_e32 v24, v23, v25
	v_sub_f32_e32 v25, v25, v23
	v_sub_f32_e32 v32, v35, v33
	v_add_f32_e32 v27, v27, v29
	v_mul_f32_e32 v29, 0xbe9e377a, v21
	v_fma_f32 v4, -0.5, v4, v11
	v_fmac_f32_e32 v11, -0.5, v22
	v_fmac_f32_e32 v29, 0x3f737871, v20
	v_add_f32_e32 v20, v32, v25
	v_mov_b32_e32 v25, v11
	v_mov_b32_e32 v31, v4
	v_sub_f32_e32 v23, v33, v35
	v_fmac_f32_e32 v25, 0xbf737871, v10
	v_fmac_f32_e32 v11, 0x3f737871, v10
	v_mul_f32_e32 v28, 0x3f167918, v28
	v_fmac_f32_e32 v31, 0x3f737871, v26
	v_add_f32_e32 v0, v35, v0
	v_add_f32_e32 v24, v23, v24
	v_fmac_f32_e32 v25, 0x3f167918, v26
	v_fmac_f32_e32 v11, 0xbf167918, v26
	;; [unrolled: 1-line block ×3, first 2 shown]
	v_mul_f32_e32 v30, 0x3f737871, v102
	v_fmac_f32_e32 v31, 0x3f167918, v10
	v_add_f32_e32 v0, v33, v0
	v_fmac_f32_e32 v25, 0x3e9e377a, v20
	v_fmac_f32_e32 v11, 0x3e9e377a, v20
	;; [unrolled: 1-line block ×4, first 2 shown]
	v_sub_f32_e32 v67, v52, v115
	v_add_f32_e32 v21, v11, v29
	v_add_f32_e32 v20, v25, v30
	;; [unrolled: 1-line block ×4, first 2 shown]
	v_fmac_f32_e32 v4, 0xbf737871, v26
	ds_write_b64 v96, v[67:68] offset:32
	ds_write2_b64 v74, v[22:23], v[20:21] offset1:1
	v_fmac_f32_e32 v4, 0xbf167918, v10
	v_sub_f32_e32 v23, v0, v27
	v_add_f32_e32 v0, v17, v1
	v_fmac_f32_e32 v4, 0x3e9e377a, v24
	v_mul_f32_e32 v24, 0xbf4f1bbd, v103
	v_add_f32_e32 v0, v19, v0
	v_fmac_f32_e32 v24, 0x3f167918, v97
	v_add_f32_e32 v0, v15, v0
	v_sub_f32_e32 v10, v11, v29
	v_add_f32_e32 v22, v4, v24
	v_sub_f32_e32 v11, v4, v24
	;; [unrolled: 2-line block ×3, first 2 shown]
	v_sub_f32_e32 v18, v17, v19
	v_sub_f32_e32 v19, v19, v17
	;; [unrolled: 1-line block ×3, first 2 shown]
	v_add_f32_e32 v16, v13, v17
	v_sub_f32_e32 v17, v13, v15
	v_sub_f32_e32 v15, v15, v13
	v_add_f32_e32 v0, v13, v0
	v_mul_f32_e32 v13, 0xbe9e377a, v3
	v_fmac_f32_e32 v13, 0x3f737871, v2
	v_add_f32_e32 v2, v17, v18
	v_fma_f32 v17, -0.5, v4, v1
	v_mov_b32_e32 v4, v17
	v_add_f32_e32 v7, v7, v110
	v_fmac_f32_e32 v4, 0x3f737871, v12
	v_fmac_f32_e32 v17, 0xbf737871, v12
	v_fmac_f32_e32 v1, -0.5, v16
	v_add_f32_e32 v5, v5, v7
	v_fmac_f32_e32 v4, 0x3f167918, v14
	v_fmac_f32_e32 v17, 0xbf167918, v14
	v_mov_b32_e32 v7, v1
	v_fmac_f32_e32 v1, 0x3f737871, v14
	v_fmac_f32_e32 v4, 0x3e9e377a, v2
	;; [unrolled: 1-line block ×3, first 2 shown]
	v_add_f32_e32 v2, v15, v19
	v_fmac_f32_e32 v7, 0xbf737871, v14
	v_fmac_f32_e32 v1, 0xbf167918, v12
	v_add_f32_e32 v9, v9, v5
	v_fmac_f32_e32 v7, 0x3f167918, v12
	v_fmac_f32_e32 v1, 0x3e9e377a, v2
	v_mul_f32_e32 v5, 0x3f167918, v6
	v_mul_f32_e32 v6, 0x3f737871, v108
	;; [unrolled: 1-line block ×3, first 2 shown]
	v_sub_f32_e32 v21, v25, v30
	v_sub_f32_e32 v20, v31, v28
	v_fmac_f32_e32 v7, 0x3e9e377a, v2
	v_fmac_f32_e32 v5, 0x3f4f1bbd, v8
	;; [unrolled: 1-line block ×4, first 2 shown]
	v_add_f32_e32 v2, v9, v0
	v_sub_f32_e32 v9, v0, v9
	v_sub_f32_e32 v0, v1, v13
	s_movk_i32 s0, 0xcd
	v_add_f32_e32 v3, v4, v5
	v_sub_f32_e32 v4, v4, v5
	v_sub_f32_e32 v5, v7, v6
	v_add_f32_e32 v6, v7, v6
	v_add_f32_e32 v7, v1, v13
	;; [unrolled: 1-line block ×3, first 2 shown]
	v_sub_f32_e32 v1, v17, v12
	ds_write2_b64 v74, v[22:23], v[20:21] offset0:2 offset1:3
	ds_write_b64 v74, v[10:11] offset:32
	ds_write2_b64 v75, v[2:3], v[6:7] offset1:1
	ds_write2_b64 v75, v[8:9], v[4:5] offset0:2 offset1:3
	ds_write_b64 v75, v[0:1] offset:32
	v_mul_lo_u16_sdwa v0, v69, s0 dst_sel:DWORD dst_unused:UNUSED_PAD src0_sel:BYTE_0 src1_sel:DWORD
	v_lshrrev_b16_e32 v99, 11, v0
	v_mul_lo_u16_e32 v0, 10, v99
	v_sub_u16_e32 v100, v69, v0
	v_mov_b32_e32 v4, 9
	v_mul_u32_u24_sdwa v0, v100, v4 dst_sel:DWORD dst_unused:UNUSED_PAD src0_sel:BYTE_0 src1_sel:DWORD
	v_lshlrev_b32_e32 v101, 3, v0
	s_waitcnt lgkmcnt(0)
	s_barrier
	global_load_dwordx4 v[0:3], v101, s[12:13]
	v_mul_lo_u16_sdwa v5, v70, s0 dst_sel:DWORD dst_unused:UNUSED_PAD src0_sel:BYTE_0 src1_sel:DWORD
	v_lshrrev_b16_e32 v97, 11, v5
	v_mul_lo_u16_e32 v5, 10, v97
	v_sub_u16_e32 v98, v70, v5
	v_mul_u32_u24_sdwa v4, v98, v4 dst_sel:DWORD dst_unused:UNUSED_PAD src0_sel:BYTE_0 src1_sel:DWORD
	v_lshlrev_b32_e32 v102, 3, v4
	global_load_dwordx4 v[4:7], v102, s[12:13]
	s_mov_b32 s0, 0xcccd
	v_mul_u32_u24_sdwa v8, v72, s0 dst_sel:DWORD dst_unused:UNUSED_PAD src0_sel:WORD_0 src1_sel:DWORD
	v_lshrrev_b32_e32 v52, 19, v8
	v_mul_lo_u16_e32 v8, 10, v52
	v_sub_u16_e32 v96, v72, v8
	v_mul_u32_u24_e32 v8, 9, v96
	v_lshlrev_b32_e32 v103, 3, v8
	global_load_dwordx4 v[8:11], v103, s[12:13]
	global_load_dwordx4 v[12:15], v101, s[12:13] offset:16
	global_load_dwordx4 v[16:19], v102, s[12:13] offset:16
	;; [unrolled: 1-line block ×5, first 2 shown]
	ds_read2_b32 v[67:68], v104 offset0:80 offset1:200
	ds_read_b32 v106, v78
	global_load_dwordx4 v[32:35], v103, s[12:13] offset:32
	ds_read_b32 v105, v79
	ds_read_b32 v104, v80
	;; [unrolled: 1-line block ×3, first 2 shown]
	global_load_dwordx4 v[109:112], v101, s[12:13] offset:48
	global_load_dwordx2 v[113:114], v101, s[12:13] offset:64
	ds_read2_b32 v[115:116], v93 offset0:64 offset1:184
	s_movk_i32 s0, 0x64
	v_cmp_gt_u32_e64 s[0:1], s0, v69
	s_waitcnt vmcnt(10) lgkmcnt(4)
	v_mul_f32_e32 v108, v106, v1
	v_mul_f32_e32 v1, v95, v1
	v_fmac_f32_e32 v108, v95, v0
	v_fma_f32 v95, v106, v0, -v1
	ds_read2_b32 v[0:1], v94 offset0:96 offset1:216
	v_mul_f32_e32 v117, v67, v3
	v_mul_f32_e32 v3, v63, v3
	v_fmac_f32_e32 v117, v63, v2
	v_fma_f32 v106, v67, v2, -v3
	s_waitcnt vmcnt(9) lgkmcnt(0)
	v_mul_f32_e32 v67, v0, v5
	v_mul_f32_e32 v2, v65, v5
	v_fmac_f32_e32 v67, v65, v4
	v_fma_f32 v65, v0, v4, -v2
	global_load_dwordx4 v[2:5], v102, s[12:13] offset:48
	v_mul_f32_e32 v94, v68, v7
	v_mul_f32_e32 v0, v64, v7
	v_fmac_f32_e32 v94, v64, v6
	v_fma_f32 v64, v68, v6, -v0
	s_waitcnt vmcnt(9)
	v_mul_f32_e32 v0, v1, v9
	v_mul_f32_e32 v6, v66, v9
	v_fmac_f32_e32 v0, v66, v8
	v_fma_f32 v1, v1, v8, -v6
	global_load_dwordx4 v[6:9], v103, s[12:13] offset:48
	v_mul_f32_e32 v63, v115, v11
	v_mul_f32_e32 v11, v61, v11
	v_fmac_f32_e32 v63, v61, v10
	v_fma_f32 v61, v115, v10, -v11
	ds_read2_b32 v[10:11], v91 offset0:32 offset1:152
	s_waitcnt vmcnt(9)
	v_mul_f32_e32 v101, v116, v13
	v_mul_f32_e32 v13, v62, v13
	v_fmac_f32_e32 v101, v62, v12
	v_fma_f32 v115, v116, v12, -v13
	s_waitcnt lgkmcnt(0)
	v_mul_f32_e32 v116, v10, v15
	v_mul_f32_e32 v15, v59, v15
	global_load_dwordx2 v[12:13], v102, s[12:13] offset:64
	v_fmac_f32_e32 v116, v59, v14
	v_fma_f32 v91, v10, v14, -v15
	ds_read2_b32 v[14:15], v92 offset0:48 offset1:168
	global_load_dwordx2 v[92:93], v103, s[12:13] offset:64
	s_waitcnt vmcnt(10)
	v_mul_f32_e32 v66, v11, v19
	v_mul_f32_e32 v10, v60, v19
	v_fmac_f32_e32 v66, v60, v18
	v_fma_f32 v60, v11, v18, -v10
	s_waitcnt lgkmcnt(0)
	v_mul_f32_e32 v18, v14, v17
	v_mul_f32_e32 v10, v57, v17
	v_fmac_f32_e32 v18, v57, v16
	v_fma_f32 v16, v14, v16, -v10
	ds_read2_b32 v[10:11], v90 offset0:16 offset1:136
	s_waitcnt vmcnt(9)
	v_mul_f32_e32 v14, v58, v21
	v_mul_f32_e32 v17, v15, v21
	v_fma_f32 v19, v15, v20, -v14
	v_mul_f32_e32 v14, v55, v23
	v_fmac_f32_e32 v17, v58, v20
	s_waitcnt lgkmcnt(0)
	v_fma_f32 v58, v10, v22, -v14
	ds_read2_b32 v[14:15], v89 offset0:112 offset1:232
	v_mul_f32_e32 v59, v10, v23
	s_waitcnt vmcnt(8)
	v_mul_f32_e32 v10, v56, v25
	v_fma_f32 v21, v11, v24, -v10
	v_mul_f32_e32 v10, v53, v27
	v_mul_f32_e32 v20, v11, v25
	s_waitcnt lgkmcnt(0)
	v_fma_f32 v102, v14, v26, -v10
	ds_read2_b32 v[10:11], v76 offset0:128 offset1:248
	v_fmac_f32_e32 v59, v55, v22
	v_mul_f32_e32 v22, v14, v27
	s_waitcnt vmcnt(7)
	v_mul_f32_e32 v14, v54, v31
	v_fma_f32 v68, v15, v30, -v14
	v_mul_f32_e32 v14, v50, v29
	v_mul_f32_e32 v89, v15, v31
	s_waitcnt lgkmcnt(0)
	v_fma_f32 v90, v10, v28, -v14
	ds_read2_b32 v[14:15], v88 offset0:96 offset1:216
	v_mul_f32_e32 v23, v10, v29
	s_waitcnt vmcnt(6)
	v_mul_f32_e32 v10, v51, v33
	v_fmac_f32_e32 v23, v50, v28
	v_fma_f32 v50, v11, v32, -v10
	v_mul_f32_e32 v10, v48, v35
	v_fmac_f32_e32 v20, v56, v24
	v_mul_f32_e32 v24, v11, v33
	s_waitcnt lgkmcnt(0)
	v_mul_f32_e32 v62, v14, v35
	v_fma_f32 v35, v14, v34, -v10
	ds_read2_b32 v[10:11], v86 offset0:64 offset1:184
	s_waitcnt vmcnt(5)
	v_mul_f32_e32 v14, v49, v110
	v_fma_f32 v27, v15, v109, -v14
	v_mul_f32_e32 v14, v46, v112
	v_mul_f32_e32 v25, v15, v110
	s_waitcnt lgkmcnt(0)
	v_fma_f32 v86, v10, v111, -v14
	ds_read2_b32 v[14:15], v87 offset0:80 offset1:200
	v_mul_f32_e32 v28, v10, v112
	v_fmac_f32_e32 v25, v49, v109
	v_fmac_f32_e32 v62, v48, v34
	;; [unrolled: 1-line block ×4, first 2 shown]
	v_mov_b32_e32 v26, 2
	v_add_f32_e32 v33, v21, v27
	s_waitcnt vmcnt(3) lgkmcnt(0)
	v_mul_f32_e32 v10, v14, v3
	v_mul_f32_e32 v3, v44, v3
	v_fmac_f32_e32 v10, v44, v2
	v_fma_f32 v49, v14, v2, -v3
	ds_read2_b32 v[2:3], v84 offset0:48 offset1:168
	v_mul_f32_e32 v48, v11, v5
	v_mul_f32_e32 v5, v47, v5
	v_fmac_f32_e32 v48, v47, v4
	v_fma_f32 v47, v11, v4, -v5
	s_waitcnt vmcnt(2)
	v_mul_f32_e32 v4, v45, v7
	v_mul_f32_e32 v11, v15, v7
	v_fma_f32 v44, v15, v6, -v4
	v_mul_f32_e32 v4, v42, v9
	v_fmac_f32_e32 v11, v45, v6
	s_waitcnt lgkmcnt(0)
	v_fma_f32 v45, v2, v8, -v4
	ds_read2_b32 v[4:5], v85 offset0:32 offset1:152
	v_mul_f32_e32 v46, v2, v9
	v_mul_f32_e32 v2, v3, v114
	;; [unrolled: 1-line block ×3, first 2 shown]
	v_fmac_f32_e32 v2, v43, v113
	v_fma_f32 v3, v3, v113, -v6
	s_waitcnt vmcnt(1)
	v_mul_f32_e32 v7, v40, v13
	s_waitcnt lgkmcnt(0)
	v_fma_f32 v84, v4, v12, -v7
	v_mul_f32_e32 v6, v4, v13
	v_fmac_f32_e32 v46, v42, v8
	s_waitcnt vmcnt(0)
	v_mul_f32_e32 v7, v41, v93
	v_mul_f32_e32 v4, v5, v93
	v_fma_f32 v43, v5, v92, -v7
	v_sub_f32_e32 v5, v117, v116
	v_sub_f32_e32 v7, v28, v22
	v_add_f32_e32 v5, v5, v7
	v_sub_f32_e32 v7, v101, v20
	v_sub_f32_e32 v8, v2, v25
	v_add_f32_e32 v7, v7, v8
	v_sub_f32_e32 v8, v115, v21
	v_sub_f32_e32 v9, v3, v27
	v_fmac_f32_e32 v89, v54, v30
	v_fmac_f32_e32 v6, v40, v12
	v_add_f32_e32 v8, v8, v9
	v_mul_u32_u24_e32 v9, 0x190, v99
	v_lshlrev_b32_sdwa v12, v26, v100 dst_sel:DWORD dst_unused:UNUSED_PAD src0_sel:DWORD src1_sel:BYTE_0
	v_add_f32_e32 v30, v20, v25
	v_fma_f32 v88, -0.5, v33, v95
	v_add3_u32 v85, 0, v9, v12
	v_add_f32_e32 v12, v116, v22
	v_fma_f32 v87, -0.5, v30, v108
	v_sub_f32_e32 v33, v101, v2
	v_mov_b32_e32 v34, v88
	v_fma_f32 v12, -0.5, v12, v83
	v_sub_f32_e32 v30, v115, v3
	v_mov_b32_e32 v31, v87
	v_fmac_f32_e32 v34, 0x3f737871, v33
	v_sub_f32_e32 v40, v20, v25
	v_fmac_f32_e32 v24, v51, v32
	v_add_f32_e32 v9, v83, v117
	v_sub_f32_e32 v13, v106, v86
	v_mov_b32_e32 v14, v12
	v_add_f32_e32 v29, v108, v101
	v_fmac_f32_e32 v31, 0xbf737871, v30
	v_sub_f32_e32 v32, v21, v27
	v_fmac_f32_e32 v34, 0x3f167918, v40
	v_add_f32_e32 v9, v9, v116
	v_fmac_f32_e32 v14, 0xbf737871, v13
	v_sub_f32_e32 v15, v91, v102
	v_add_f32_e32 v29, v29, v20
	v_fmac_f32_e32 v31, 0xbf167918, v32
	v_fmac_f32_e32 v34, 0x3e9e377a, v8
	;; [unrolled: 1-line block ×3, first 2 shown]
	v_add_f32_e32 v9, v9, v22
	v_fmac_f32_e32 v14, 0xbf167918, v15
	v_add_f32_e32 v29, v29, v25
	v_fmac_f32_e32 v31, 0x3e9e377a, v7
	v_mul_f32_e32 v41, 0xbf167918, v34
	v_add_f32_e32 v9, v9, v28
	v_fmac_f32_e32 v14, 0x3e9e377a, v5
	v_add_f32_e32 v29, v29, v2
	v_fmac_f32_e32 v41, 0x3f4f1bbd, v31
	v_add_f32_e32 v42, v9, v29
	v_add_f32_e32 v51, v14, v41
	s_barrier
	ds_write2_b32 v85, v42, v51 offset1:10
	v_add_f32_e32 v42, v117, v28
	v_fmac_f32_e32 v83, -0.5, v42
	v_sub_f32_e32 v42, v116, v117
	v_sub_f32_e32 v51, v22, v28
	v_add_f32_e32 v42, v42, v51
	v_mov_b32_e32 v51, v83
	v_fmac_f32_e32 v51, 0x3f737871, v15
	v_fmac_f32_e32 v83, 0xbf737871, v15
	;; [unrolled: 1-line block ×6, first 2 shown]
	v_add_f32_e32 v42, v101, v2
	v_fmac_f32_e32 v108, -0.5, v42
	v_mov_b32_e32 v92, v108
	v_sub_f32_e32 v20, v20, v101
	v_sub_f32_e32 v2, v25, v2
	v_fmac_f32_e32 v92, 0x3f737871, v32
	v_fmac_f32_e32 v108, 0xbf737871, v32
	v_add_f32_e32 v2, v20, v2
	v_fmac_f32_e32 v92, 0xbf167918, v30
	v_fmac_f32_e32 v108, 0x3f167918, v30
	v_add_f32_e32 v20, v115, v3
	;; [unrolled: 3-line block ×3, first 2 shown]
	v_fmac_f32_e32 v95, -0.5, v20
	v_mov_b32_e32 v93, v95
	v_fmac_f32_e32 v88, 0xbf737871, v33
	v_sub_f32_e32 v20, v21, v115
	v_sub_f32_e32 v25, v27, v3
	v_fmac_f32_e32 v93, 0xbf737871, v40
	v_fmac_f32_e32 v87, 0x3f737871, v30
	;; [unrolled: 1-line block ×3, first 2 shown]
	v_add_f32_e32 v20, v20, v25
	v_fmac_f32_e32 v93, 0x3f167918, v33
	v_fmac_f32_e32 v95, 0x3f737871, v40
	;; [unrolled: 1-line block ×9, first 2 shown]
	v_mul_f32_e32 v7, 0xbf167918, v88
	v_fmac_f32_e32 v95, 0x3e9e377a, v20
	v_mul_f32_e32 v20, 0xbf737871, v93
	v_fmac_f32_e32 v12, 0x3e9e377a, v5
	v_fmac_f32_e32 v7, 0xbf4f1bbd, v87
	;; [unrolled: 1-line block ×3, first 2 shown]
	v_mul_f32_e32 v25, 0xbf737871, v95
	v_sub_f32_e32 v5, v9, v29
	v_add_f32_e32 v8, v12, v7
	v_fmac_f32_e32 v25, 0xbe9e377a, v108
	ds_write2_b32 v85, v8, v5 offset0:40 offset1:50
	v_sub_f32_e32 v5, v14, v41
	v_sub_f32_e32 v8, v51, v20
	ds_write2_b32 v85, v5, v8 offset0:60 offset1:70
	v_sub_f32_e32 v5, v83, v25
	v_sub_f32_e32 v7, v12, v7
	ds_write2_b32 v85, v5, v7 offset0:80 offset1:90
	v_sub_f32_e32 v5, v94, v66
	v_sub_f32_e32 v7, v48, v89
	v_add_f32_e32 v5, v5, v7
	v_sub_f32_e32 v7, v18, v23
	v_sub_f32_e32 v8, v6, v10
	v_add_f32_e32 v7, v7, v8
	v_sub_f32_e32 v8, v16, v90
	v_sub_f32_e32 v9, v84, v49
	v_add_f32_e32 v30, v90, v49
	v_add_f32_e32 v53, v83, v25
	;; [unrolled: 1-line block ×3, first 2 shown]
	v_mul_u32_u24_e32 v9, 0x190, v97
	v_lshlrev_b32_sdwa v12, v26, v98 dst_sel:DWORD dst_unused:UNUSED_PAD src0_sel:DWORD src1_sel:BYTE_0
	v_add_f32_e32 v25, v23, v10
	v_fma_f32 v99, -0.5, v30, v65
	v_add3_u32 v83, 0, v9, v12
	v_add_f32_e32 v12, v66, v89
	v_fma_f32 v97, -0.5, v25, v67
	v_sub_f32_e32 v30, v18, v6
	v_mov_b32_e32 v100, v99
	v_fma_f32 v12, -0.5, v12, v82
	v_sub_f32_e32 v25, v16, v84
	v_mov_b32_e32 v98, v97
	v_fmac_f32_e32 v100, 0x3f737871, v30
	v_sub_f32_e32 v32, v23, v10
	v_add_f32_e32 v42, v51, v20
	v_add_f32_e32 v9, v82, v94
	v_sub_f32_e32 v13, v64, v47
	v_mov_b32_e32 v14, v12
	v_add_f32_e32 v20, v67, v18
	v_fmac_f32_e32 v98, 0xbf737871, v25
	v_sub_f32_e32 v29, v90, v49
	v_fmac_f32_e32 v100, 0x3f167918, v32
	v_add_f32_e32 v9, v9, v66
	v_fmac_f32_e32 v14, 0xbf737871, v13
	v_sub_f32_e32 v15, v60, v68
	v_add_f32_e32 v20, v20, v23
	v_fmac_f32_e32 v98, 0xbf167918, v29
	v_fmac_f32_e32 v100, 0x3e9e377a, v8
	v_add_f32_e32 v9, v9, v89
	v_fmac_f32_e32 v14, 0xbf167918, v15
	v_add_f32_e32 v20, v20, v10
	v_fmac_f32_e32 v98, 0x3e9e377a, v7
	v_mul_f32_e32 v33, 0xbf167918, v100
	v_add_f32_e32 v9, v9, v48
	v_fmac_f32_e32 v14, 0x3e9e377a, v5
	v_add_f32_e32 v20, v20, v6
	v_fmac_f32_e32 v33, 0x3f4f1bbd, v98
	v_add_f32_e32 v40, v9, v20
	v_add_f32_e32 v41, v14, v33
	ds_write2_b32 v85, v42, v53 offset0:20 offset1:30
	ds_write2_b32 v83, v40, v41 offset1:10
	v_add_f32_e32 v40, v94, v48
	v_fmac_f32_e32 v82, -0.5, v40
	v_sub_f32_e32 v40, v66, v94
	v_sub_f32_e32 v41, v89, v48
	v_add_f32_e32 v40, v40, v41
	v_mov_b32_e32 v41, v82
	v_fmac_f32_e32 v41, 0x3f737871, v15
	v_fmac_f32_e32 v82, 0xbf737871, v15
	;; [unrolled: 1-line block ×6, first 2 shown]
	v_add_f32_e32 v40, v18, v6
	v_fmac_f32_e32 v67, -0.5, v40
	v_mov_b32_e32 v101, v67
	v_sub_f32_e32 v18, v23, v18
	v_sub_f32_e32 v6, v10, v6
	v_fmac_f32_e32 v101, 0x3f737871, v29
	v_fmac_f32_e32 v67, 0xbf737871, v29
	v_add_f32_e32 v6, v18, v6
	v_fmac_f32_e32 v101, 0xbf167918, v25
	v_fmac_f32_e32 v67, 0x3f167918, v25
	;; [unrolled: 1-line block ×4, first 2 shown]
	v_add_f32_e32 v6, v16, v84
	v_add_f32_e32 v103, v65, v16
	v_fmac_f32_e32 v65, -0.5, v6
	v_mov_b32_e32 v109, v65
	v_fmac_f32_e32 v99, 0xbf737871, v30
	v_sub_f32_e32 v6, v90, v16
	v_sub_f32_e32 v10, v49, v84
	v_fmac_f32_e32 v109, 0xbf737871, v32
	v_fmac_f32_e32 v97, 0x3f737871, v25
	;; [unrolled: 1-line block ×3, first 2 shown]
	v_add_f32_e32 v6, v6, v10
	v_fmac_f32_e32 v109, 0x3f167918, v30
	v_fmac_f32_e32 v65, 0x3f737871, v32
	;; [unrolled: 1-line block ×9, first 2 shown]
	v_mul_f32_e32 v7, 0xbf167918, v99
	v_fmac_f32_e32 v65, 0x3e9e377a, v6
	v_mul_f32_e32 v6, 0xbf737871, v109
	v_fmac_f32_e32 v12, 0x3e9e377a, v5
	v_fmac_f32_e32 v7, 0xbf4f1bbd, v97
	;; [unrolled: 1-line block ×3, first 2 shown]
	v_mul_f32_e32 v10, 0xbf737871, v65
	v_sub_f32_e32 v5, v9, v20
	v_add_f32_e32 v8, v12, v7
	v_fmac_f32_e32 v10, 0xbe9e377a, v67
	v_add_f32_e32 v16, v41, v6
	ds_write2_b32 v83, v8, v5 offset0:40 offset1:50
	v_sub_f32_e32 v5, v14, v33
	v_sub_f32_e32 v6, v41, v6
	ds_write2_b32 v83, v5, v6 offset0:60 offset1:70
	v_sub_f32_e32 v5, v82, v10
	v_sub_f32_e32 v6, v12, v7
	;; [unrolled: 3-line block ×3, first 2 shown]
	v_add_f32_e32 v18, v82, v10
	v_add_f32_e32 v5, v5, v6
	v_sub_f32_e32 v6, v17, v24
	v_sub_f32_e32 v7, v4, v11
	ds_write2_b32 v83, v16, v18 offset0:20 offset1:30
	v_add_f32_e32 v6, v6, v7
	v_sub_f32_e32 v7, v19, v50
	v_sub_f32_e32 v8, v43, v44
	v_add_f32_e32 v18, v50, v44
	v_add_f32_e32 v7, v7, v8
	v_mul_u32_u24_e32 v8, 0x190, v52
	v_lshlrev_b32_e32 v9, 2, v96
	v_add_f32_e32 v15, v24, v11
	v_fma_f32 v111, -0.5, v18, v1
	v_add3_u32 v82, 0, v8, v9
	v_add_f32_e32 v9, v59, v62
	v_fma_f32 v96, -0.5, v15, v0
	v_sub_f32_e32 v18, v17, v4
	v_mov_b32_e32 v112, v111
	v_fma_f32 v9, -0.5, v9, v81
	v_sub_f32_e32 v15, v19, v43
	v_mov_b32_e32 v110, v96
	v_fmac_f32_e32 v112, 0x3f737871, v18
	v_sub_f32_e32 v20, v24, v11
	v_add_f32_e32 v8, v81, v63
	v_sub_f32_e32 v10, v61, v45
	v_mov_b32_e32 v12, v9
	v_add_f32_e32 v14, v0, v17
	v_fmac_f32_e32 v110, 0xbf737871, v15
	v_sub_f32_e32 v16, v50, v44
	v_fmac_f32_e32 v112, 0x3f167918, v20
	v_add_f32_e32 v8, v8, v59
	v_fmac_f32_e32 v12, 0xbf737871, v10
	v_sub_f32_e32 v13, v58, v35
	v_add_f32_e32 v14, v14, v24
	v_fmac_f32_e32 v110, 0xbf167918, v16
	v_fmac_f32_e32 v112, 0x3e9e377a, v7
	v_add_f32_e32 v8, v8, v62
	v_fmac_f32_e32 v12, 0xbf167918, v13
	v_add_f32_e32 v14, v14, v11
	v_fmac_f32_e32 v110, 0x3e9e377a, v6
	v_mul_f32_e32 v23, 0xbf167918, v112
	v_add_f32_e32 v8, v8, v46
	v_fmac_f32_e32 v12, 0x3e9e377a, v5
	v_add_f32_e32 v14, v14, v4
	v_fmac_f32_e32 v23, 0x3f4f1bbd, v110
	v_add_f32_e32 v25, v8, v14
	v_add_f32_e32 v29, v12, v23
	ds_write2_b32 v82, v25, v29 offset1:10
	v_add_f32_e32 v25, v63, v46
	v_fmac_f32_e32 v81, -0.5, v25
	v_sub_f32_e32 v25, v59, v63
	v_sub_f32_e32 v29, v62, v46
	v_add_f32_e32 v25, v25, v29
	v_mov_b32_e32 v29, v81
	v_fmac_f32_e32 v29, 0x3f737871, v13
	v_fmac_f32_e32 v81, 0xbf737871, v13
	;; [unrolled: 1-line block ×6, first 2 shown]
	v_add_f32_e32 v25, v17, v4
	v_fmac_f32_e32 v0, -0.5, v25
	v_mov_b32_e32 v113, v0
	v_sub_f32_e32 v17, v24, v17
	v_sub_f32_e32 v4, v11, v4
	v_fmac_f32_e32 v113, 0x3f737871, v16
	v_fmac_f32_e32 v0, 0xbf737871, v16
	v_add_f32_e32 v4, v17, v4
	v_fmac_f32_e32 v113, 0xbf167918, v15
	v_fmac_f32_e32 v0, 0x3f167918, v15
	;; [unrolled: 1-line block ×4, first 2 shown]
	v_add_f32_e32 v4, v19, v43
	v_add_f32_e32 v114, v1, v19
	v_fmac_f32_e32 v1, -0.5, v4
	v_mov_b32_e32 v115, v1
	v_fmac_f32_e32 v111, 0xbf737871, v18
	v_add_f32_e32 v2, v2, v21
	v_sub_f32_e32 v4, v50, v19
	v_sub_f32_e32 v11, v44, v43
	v_fmac_f32_e32 v115, 0xbf737871, v20
	v_fmac_f32_e32 v96, 0x3f737871, v15
	v_fmac_f32_e32 v111, 0xbf167918, v20
	v_add_f32_e32 v2, v2, v27
	v_add_f32_e32 v4, v4, v11
	v_fmac_f32_e32 v115, 0x3f167918, v18
	v_fmac_f32_e32 v1, 0x3f737871, v20
	;; [unrolled: 1-line block ×5, first 2 shown]
	v_add_f32_e32 v118, v2, v3
	v_add_f32_e32 v2, v107, v106
	v_fmac_f32_e32 v115, 0x3e9e377a, v4
	v_fmac_f32_e32 v1, 0xbf167918, v18
	;; [unrolled: 1-line block ×4, first 2 shown]
	v_mul_f32_e32 v6, 0xbf167918, v111
	v_add_f32_e32 v2, v2, v91
	v_fmac_f32_e32 v1, 0x3e9e377a, v4
	v_mul_f32_e32 v4, 0xbf737871, v115
	v_fmac_f32_e32 v9, 0x3e9e377a, v5
	v_fmac_f32_e32 v6, 0xbf4f1bbd, v96
	v_add_f32_e32 v2, v2, v102
	v_fmac_f32_e32 v4, 0x3e9e377a, v113
	v_mul_f32_e32 v11, 0xbf737871, v1
	v_sub_f32_e32 v5, v8, v14
	v_add_f32_e32 v7, v9, v6
	v_add_f32_e32 v120, v2, v86
	;; [unrolled: 1-line block ×3, first 2 shown]
	v_fmac_f32_e32 v11, 0xbe9e377a, v0
	v_add_f32_e32 v17, v29, v4
	ds_write2_b32 v82, v7, v5 offset0:40 offset1:50
	v_sub_f32_e32 v5, v12, v23
	v_sub_f32_e32 v4, v29, v4
	v_fma_f32 v121, -0.5, v2, v107
	v_add_f32_e32 v19, v81, v11
	ds_write2_b32 v82, v5, v4 offset0:60 offset1:70
	v_sub_f32_e32 v4, v81, v11
	v_sub_f32_e32 v5, v9, v6
	;; [unrolled: 1-line block ×3, first 2 shown]
	v_mov_b32_e32 v122, v121
	ds_write2_b32 v82, v4, v5 offset0:80 offset1:90
	v_sub_f32_e32 v116, v116, v22
	v_sub_f32_e32 v4, v106, v91
	;; [unrolled: 1-line block ×3, first 2 shown]
	v_fmac_f32_e32 v122, 0x3f737871, v81
	v_add_f32_e32 v117, v4, v5
	v_mul_f32_e32 v119, 0x3f4f1bbd, v34
	v_fmac_f32_e32 v122, 0x3f167918, v116
	v_fmac_f32_e32 v119, 0x3f167918, v31
	;; [unrolled: 1-line block ×3, first 2 shown]
	v_add_f32_e32 v123, v120, v118
	v_add_f32_e32 v124, v122, v119
	ds_write2_b32 v82, v17, v19 offset0:20 offset1:30
	s_waitcnt lgkmcnt(0)
	s_barrier
	ds_read_b32 v33, v77
	v_add_u32_e32 v53, 0x800, v77
	v_add_u32_e32 v29, 0x1000, v77
	;; [unrolled: 1-line block ×11, first 2 shown]
	v_lshl_add_u32 v57, v73, 2, 0
	ds_read_b32 v31, v80
	ds_read_b32 v32, v79
	;; [unrolled: 1-line block ×4, first 2 shown]
	ds_read_b32 v34, v77 offset:13920
	ds_read2_b32 v[24:25], v53 offset0:88 offset1:208
	ds_read2_b32 v[16:17], v29 offset0:56 offset1:176
	ds_read2_b32 v[14:15], v76 offset0:8 offset1:128
	ds_read2_b32 v[6:7], v28 offset0:104 offset1:224
	ds_read2_b32 v[4:5], v54 offset0:56 offset1:176
	ds_read2_b32 v[22:23], v55 offset0:40 offset1:160
	ds_read2_b32 v[12:13], v56 offset0:88 offset1:208
	ds_read2_b32 v[20:21], v40 offset0:72 offset1:192
	ds_read2_b32 v[10:11], v51 offset0:120 offset1:240
	ds_read2_b32 v[2:3], v52 offset0:40 offset1:160
	ds_read2_b32 v[18:19], v42 offset0:24 offset1:144
	ds_read2_b32 v[8:9], v41 offset0:72 offset1:192
	s_waitcnt lgkmcnt(0)
	s_barrier
	ds_write2_b32 v85, v123, v124 offset1:10
	v_add_f32_e32 v123, v106, v86
	v_fmac_f32_e32 v107, -0.5, v123
	v_sub_f32_e32 v91, v91, v106
	v_sub_f32_e32 v86, v102, v86
	v_add_f32_e32 v86, v91, v86
	v_mov_b32_e32 v91, v107
	v_fmac_f32_e32 v91, 0xbf737871, v116
	v_fmac_f32_e32 v107, 0x3f737871, v116
	;; [unrolled: 1-line block ×6, first 2 shown]
	v_mul_f32_e32 v81, 0xbf4f1bbd, v88
	v_fmac_f32_e32 v91, 0x3e9e377a, v86
	v_fmac_f32_e32 v107, 0x3e9e377a, v86
	v_mul_f32_e32 v86, 0x3e9e377a, v93
	v_fmac_f32_e32 v121, 0x3e9e377a, v117
	v_fmac_f32_e32 v81, 0x3f167918, v87
	;; [unrolled: 1-line block ×3, first 2 shown]
	v_mul_f32_e32 v92, 0xbe9e377a, v95
	v_sub_f32_e32 v87, v120, v118
	v_add_f32_e32 v88, v121, v81
	v_fmac_f32_e32 v92, 0x3f737871, v108
	v_add_f32_e32 v93, v91, v86
	ds_write2_b32 v85, v88, v87 offset0:40 offset1:50
	v_sub_f32_e32 v87, v122, v119
	v_sub_f32_e32 v86, v91, v86
	v_add_f32_e32 v95, v107, v92
	ds_write2_b32 v85, v87, v86 offset0:60 offset1:70
	v_sub_f32_e32 v86, v107, v92
	v_sub_f32_e32 v81, v121, v81
	ds_write2_b32 v85, v93, v95 offset0:20 offset1:30
	ds_write2_b32 v85, v86, v81 offset0:80 offset1:90
	v_sub_f32_e32 v81, v64, v60
	v_sub_f32_e32 v85, v47, v68
	v_add_f32_e32 v81, v81, v85
	v_add_f32_e32 v85, v103, v90
	;; [unrolled: 1-line block ×4, first 2 shown]
	v_fma_f32 v85, -0.5, v85, v105
	v_sub_f32_e32 v48, v94, v48
	v_mov_b32_e32 v86, v85
	v_add_f32_e32 v87, v105, v64
	v_sub_f32_e32 v66, v66, v89
	v_fmac_f32_e32 v86, 0x3f737871, v48
	v_add_f32_e32 v87, v87, v60
	v_add_f32_e32 v49, v49, v84
	v_mul_f32_e32 v84, 0x3f4f1bbd, v100
	v_fmac_f32_e32 v86, 0x3f167918, v66
	v_add_f32_e32 v87, v87, v68
	v_fmac_f32_e32 v84, 0x3f167918, v98
	v_fmac_f32_e32 v86, 0x3e9e377a, v81
	v_add_f32_e32 v87, v87, v47
	v_add_f32_e32 v88, v87, v49
	;; [unrolled: 1-line block ×3, first 2 shown]
	ds_write2_b32 v83, v88, v89 offset1:10
	v_add_f32_e32 v88, v64, v47
	v_fmac_f32_e32 v105, -0.5, v88
	v_sub_f32_e32 v60, v60, v64
	v_sub_f32_e32 v47, v68, v47
	v_sub_f32_e32 v46, v63, v46
	v_sub_f32_e32 v59, v59, v62
	v_sub_f32_e32 v62, v61, v58
	v_sub_f32_e32 v63, v45, v35
	v_add_f32_e32 v47, v60, v47
	v_mov_b32_e32 v60, v105
	v_add_f32_e32 v62, v62, v63
	v_add_f32_e32 v63, v58, v35
	v_fmac_f32_e32 v60, 0xbf737871, v66
	v_fmac_f32_e32 v105, 0x3f737871, v66
	;; [unrolled: 1-line block ×3, first 2 shown]
	v_fma_f32 v63, -0.5, v63, v104
	v_fmac_f32_e32 v60, 0x3f167918, v48
	v_fmac_f32_e32 v105, 0xbf167918, v48
	;; [unrolled: 1-line block ×3, first 2 shown]
	v_mov_b32_e32 v66, v63
	v_fmac_f32_e32 v60, 0x3e9e377a, v47
	v_fmac_f32_e32 v105, 0x3e9e377a, v47
	v_mul_f32_e32 v47, 0x3e9e377a, v109
	v_mul_f32_e32 v64, 0xbe9e377a, v65
	v_fmac_f32_e32 v66, 0x3f737871, v46
	v_fmac_f32_e32 v63, 0xbf737871, v46
	;; [unrolled: 1-line block ×6, first 2 shown]
	v_add_f32_e32 v65, v60, v47
	v_add_f32_e32 v67, v105, v64
	v_fmac_f32_e32 v66, 0x3e9e377a, v62
	v_fmac_f32_e32 v63, 0x3e9e377a, v62
	v_add_f32_e32 v62, v104, v61
	ds_write2_b32 v83, v65, v67 offset0:20 offset1:30
	v_add_f32_e32 v67, v61, v45
	v_add_f32_e32 v62, v62, v58
	v_fmac_f32_e32 v104, -0.5, v67
	v_sub_f32_e32 v58, v58, v61
	v_add_f32_e32 v61, v62, v35
	v_add_f32_e32 v61, v61, v45
	v_sub_f32_e32 v35, v35, v45
	v_mov_b32_e32 v45, v104
	v_fmac_f32_e32 v45, 0xbf737871, v59
	v_fmac_f32_e32 v104, 0x3f737871, v59
	v_add_f32_e32 v35, v58, v35
	v_fmac_f32_e32 v45, 0x3f167918, v46
	v_fmac_f32_e32 v104, 0xbf167918, v46
	;; [unrolled: 1-line block ×4, first 2 shown]
	v_add_f32_e32 v35, v114, v50
	v_mul_f32_e32 v1, 0xbe9e377a, v1
	v_mul_f32_e32 v48, 0xbf4f1bbd, v99
	v_add_f32_e32 v35, v35, v44
	v_fmac_f32_e32 v1, 0x3f737871, v0
	v_mul_f32_e32 v0, 0xbf4f1bbd, v111
	v_fmac_f32_e32 v85, 0x3e9e377a, v81
	v_fmac_f32_e32 v48, 0x3f167918, v97
	v_add_f32_e32 v35, v35, v43
	v_mul_f32_e32 v43, 0x3f4f1bbd, v112
	v_mul_f32_e32 v44, 0x3e9e377a, v115
	v_fmac_f32_e32 v0, 0x3f167918, v96
	v_sub_f32_e32 v49, v87, v49
	v_sub_f32_e32 v47, v60, v47
	;; [unrolled: 1-line block ×3, first 2 shown]
	v_add_f32_e32 v64, v85, v48
	v_fmac_f32_e32 v43, 0x3f167918, v110
	v_fmac_f32_e32 v44, 0x3f737871, v113
	v_add_f32_e32 v59, v63, v0
	v_sub_f32_e32 v0, v63, v0
	v_sub_f32_e32 v65, v86, v84
	;; [unrolled: 1-line block ×3, first 2 shown]
	v_add_f32_e32 v46, v61, v35
	v_sub_f32_e32 v35, v61, v35
	v_add_f32_e32 v50, v66, v43
	v_sub_f32_e32 v43, v66, v43
	;; [unrolled: 2-line block ×4, first 2 shown]
	ds_write2_b32 v83, v64, v49 offset0:40 offset1:50
	ds_write2_b32 v83, v65, v47 offset0:60 offset1:70
	;; [unrolled: 1-line block ×3, first 2 shown]
	ds_write2_b32 v82, v46, v50 offset1:10
	ds_write2_b32 v82, v58, v45 offset0:20 offset1:30
	ds_write2_b32 v82, v59, v35 offset0:40 offset1:50
	ds_write2_b32 v82, v43, v44 offset0:60 offset1:70
	ds_write2_b32 v82, v1, v0 offset0:80 offset1:90
	v_add_u32_e32 v0, 0xffffff9c, v69
	v_cndmask_b32_e64 v35, v0, v69, s[0:1]
	v_mul_i32_i24_e32 v0, 5, v35
	v_mov_b32_e32 v1, 0
	v_lshlrev_b64 v[43:44], 3, v[0:1]
	v_mov_b32_e32 v0, s13
	v_add_co_u32_e64 v66, s[0:1], s12, v43
	v_addc_co_u32_e64 v67, s[0:1], v0, v44, s[0:1]
	v_mov_b32_e32 v0, 41
	v_mul_lo_u16_sdwa v0, v70, v0 dst_sel:DWORD dst_unused:UNUSED_PAD src0_sel:BYTE_0 src1_sel:DWORD
	s_waitcnt lgkmcnt(0)
	s_barrier
	global_load_dwordx4 v[62:65], v[66:67], off offset:720
	v_lshrrev_b16_e32 v46, 12, v0
	v_lshrrev_b16_e32 v43, 2, v72
	v_mul_lo_u16_e32 v0, 0x64, v46
	v_mul_u32_u24_e32 v43, 0x147b, v43
	v_sub_u16_e32 v61, v70, v0
	v_mov_b32_e32 v0, 5
	v_lshrrev_b32_e32 v58, 17, v43
	v_mul_u32_u24_sdwa v0, v61, v0 dst_sel:DWORD dst_unused:UNUSED_PAD src0_sel:BYTE_0 src1_sel:DWORD
	v_mul_lo_u16_e32 v43, 0x64, v58
	v_lshlrev_b32_e32 v0, 3, v0
	v_sub_u16_e32 v60, v72, v43
	v_lshrrev_b16_e32 v44, 2, v71
	global_load_dwordx4 v[84:87], v0, s[12:13] offset:720
	v_mul_u32_u24_e32 v43, 5, v60
	v_mul_u32_u24_e32 v44, 0x147b, v44
	v_lshlrev_b32_e32 v43, 3, v43
	global_load_dwordx4 v[88:91], v43, s[12:13] offset:720
	v_lshrrev_b32_e32 v48, 17, v44
	v_mul_lo_u16_e32 v44, 0x64, v48
	v_sub_u16_e32 v59, v71, v44
	v_mul_u32_u24_e32 v44, 5, v59
	v_lshlrev_b32_e32 v81, 3, v44
	global_load_dwordx4 v[92:95], v81, s[12:13] offset:720
	v_lshrrev_b16_e32 v44, 2, v73
	v_mul_u32_u24_e32 v44, 0x147b, v44
	v_lshrrev_b32_e32 v45, 17, v44
	v_mul_lo_u16_e32 v44, 0x64, v45
	v_sub_u16_e32 v47, v73, v44
	v_mul_u32_u24_e32 v44, 5, v47
	v_lshlrev_b32_e32 v127, 3, v44
	global_load_dwordx4 v[96:99], v127, s[12:13] offset:720
	global_load_dwordx4 v[100:103], v[66:67], off offset:736
	global_load_dwordx4 v[104:107], v0, s[12:13] offset:736
	global_load_dwordx4 v[108:111], v43, s[12:13] offset:736
	ds_read2_b32 v[120:121], v29 offset0:56 offset1:176
	global_load_dwordx4 v[112:115], v81, s[12:13] offset:736
	global_load_dwordx2 v[125:126], v0, s[12:13] offset:752
	ds_read2_b32 v[49:50], v53 offset0:88 offset1:208
	global_load_dwordx4 v[116:119], v127, s[12:13] offset:736
	global_load_dwordx2 v[123:124], v[66:67], off offset:752
	s_movk_i32 s0, 0x63
	v_cmp_lt_u32_e64 s[0:1], s0, v69
	v_lshlrev_b32_e32 v35, 2, v35
	s_waitcnt vmcnt(11) lgkmcnt(1)
	v_mul_f32_e32 v82, v121, v65
	v_fmac_f32_e32 v82, v17, v64
	v_mul_f32_e32 v17, v17, v65
	v_fma_f32 v83, v121, v64, -v17
	ds_read2_b32 v[121:122], v55 offset0:40 offset1:160
	s_waitcnt lgkmcnt(1)
	v_mul_f32_e32 v44, v49, v63
	v_fmac_f32_e32 v44, v24, v62
	v_mul_f32_e32 v24, v24, v63
	v_fma_f32 v49, v49, v62, -v24
	s_waitcnt vmcnt(10)
	v_mul_f32_e32 v62, v50, v85
	v_fmac_f32_e32 v62, v25, v84
	v_mul_f32_e32 v17, v25, v85
	ds_read2_b32 v[24:25], v40 offset0:72 offset1:192
	v_fma_f32 v64, v50, v84, -v17
	s_waitcnt lgkmcnt(1)
	v_mul_f32_e32 v67, v121, v87
	s_waitcnt vmcnt(9)
	v_mul_f32_e32 v50, v122, v91
	v_fmac_f32_e32 v67, v22, v86
	v_mul_f32_e32 v17, v22, v87
	v_fmac_f32_e32 v50, v23, v90
	v_mul_f32_e32 v0, v23, v91
	global_load_dwordx2 v[22:23], v43, s[12:13] offset:752
	v_fma_f32 v66, v122, v90, -v0
	global_load_dwordx2 v[90:91], v81, s[12:13] offset:752
	v_mul_f32_e32 v0, v20, v89
	v_fma_f32 v68, v121, v86, -v17
	s_waitcnt lgkmcnt(0)
	v_mul_f32_e32 v63, v24, v89
	v_fma_f32 v65, v24, v88, -v0
	s_waitcnt vmcnt(10)
	v_mul_f32_e32 v17, v25, v93
	v_mul_f32_e32 v0, v21, v93
	v_fmac_f32_e32 v63, v20, v88
	v_fmac_f32_e32 v17, v21, v92
	v_fma_f32 v20, v25, v92, -v0
	global_load_dwordx2 v[92:93], v127, s[12:13] offset:752
	ds_read2_b32 v[84:85], v42 offset0:24 offset1:144
	ds_read2_b32 v[86:87], v76 offset0:8 offset1:128
	v_mul_f32_e32 v0, v18, v95
	ds_read2_b32 v[88:89], v28 offset0:104 offset1:224
	s_waitcnt lgkmcnt(2)
	v_mul_f32_e32 v24, v84, v95
	v_fmac_f32_e32 v24, v18, v94
	s_waitcnt vmcnt(10)
	v_mul_f32_e32 v18, v19, v99
	v_fma_f32 v43, v84, v94, -v0
	v_mul_f32_e32 v21, v85, v99
	v_fma_f32 v25, v85, v98, -v18
	ds_read2_b32 v[84:85], v56 offset0:88 offset1:208
	v_mul_f32_e32 v0, v120, v97
	v_fmac_f32_e32 v0, v16, v96
	v_mul_f32_e32 v16, v16, v97
	v_fma_f32 v16, v120, v96, -v16
	s_waitcnt vmcnt(9) lgkmcnt(2)
	v_mul_f32_e32 v96, v86, v101
	v_fmac_f32_e32 v96, v14, v100
	v_mul_f32_e32 v14, v14, v101
	v_fmac_f32_e32 v21, v19, v98
	v_fma_f32 v97, v86, v100, -v14
	s_waitcnt vmcnt(8)
	v_mul_f32_e32 v98, v87, v105
	v_mul_f32_e32 v14, v15, v105
	s_waitcnt lgkmcnt(0)
	v_mul_f32_e32 v86, v84, v107
	v_fmac_f32_e32 v98, v15, v104
	v_fma_f32 v99, v87, v104, -v14
	v_fmac_f32_e32 v86, v12, v106
	v_mul_f32_e32 v12, v12, v107
	ds_read2_b32 v[14:15], v51 offset0:120 offset1:240
	v_fma_f32 v87, v84, v106, -v12
	s_waitcnt vmcnt(7)
	v_mul_f32_e32 v84, v85, v111
	v_mul_f32_e32 v12, v13, v111
	v_fmac_f32_e32 v84, v13, v110
	v_fma_f32 v85, v85, v110, -v12
	ds_read2_b32 v[12:13], v41 offset0:72 offset1:192
	s_waitcnt lgkmcnt(1)
	v_mul_f32_e32 v100, v14, v109
	v_fmac_f32_e32 v100, v10, v108
	v_mul_f32_e32 v10, v10, v109
	v_fma_f32 v101, v14, v108, -v10
	s_waitcnt vmcnt(6) lgkmcnt(0)
	v_mul_f32_e32 v14, v12, v115
	v_mul_f32_e32 v10, v11, v113
	v_fmac_f32_e32 v14, v8, v114
	v_mul_f32_e32 v8, v8, v115
	v_mul_f32_e32 v18, v89, v103
	;; [unrolled: 1-line block ×3, first 2 shown]
	v_fma_f32 v10, v15, v112, -v10
	v_fma_f32 v15, v12, v114, -v8
	s_waitcnt vmcnt(4)
	v_mul_f32_e32 v8, v88, v117
	v_fmac_f32_e32 v18, v7, v102
	v_mul_f32_e32 v7, v7, v103
	v_fmac_f32_e32 v8, v6, v116
	v_mul_f32_e32 v6, v6, v117
	v_fma_f32 v7, v89, v102, -v7
	v_fma_f32 v6, v88, v116, -v6
	ds_read2_b32 v[88:89], v54 offset0:56 offset1:176
	ds_read2_b32 v[94:95], v52 offset0:40 offset1:160
	v_fmac_f32_e32 v19, v11, v112
	v_mul_f32_e32 v12, v13, v119
	v_fmac_f32_e32 v12, v9, v118
	s_waitcnt lgkmcnt(1)
	v_mul_f32_e32 v11, v89, v126
	v_mul_f32_e32 v9, v9, v119
	v_fmac_f32_e32 v11, v5, v125
	v_mul_f32_e32 v5, v5, v126
	v_fma_f32 v13, v13, v118, -v9
	s_waitcnt vmcnt(3)
	v_mul_f32_e32 v9, v88, v124
	v_fma_f32 v89, v89, v125, -v5
	v_fmac_f32_e32 v9, v4, v123
	s_waitcnt vmcnt(2) lgkmcnt(0)
	v_mul_f32_e32 v5, v94, v23
	v_mul_f32_e32 v4, v4, v124
	v_fmac_f32_e32 v5, v2, v22
	v_mul_f32_e32 v2, v2, v23
	v_fma_f32 v4, v88, v123, -v4
	v_fma_f32 v88, v94, v22, -v2
	s_waitcnt vmcnt(1)
	v_mul_f32_e32 v2, v95, v91
	v_fmac_f32_e32 v2, v3, v90
	v_mul_f32_e32 v3, v3, v91
	v_fma_f32 v81, v95, v90, -v3
	ds_read_b32 v3, v77 offset:13920
	ds_read_b32 v90, v80
	ds_read_b32 v91, v79
	;; [unrolled: 1-line block ×5, first 2 shown]
	s_waitcnt vmcnt(0) lgkmcnt(0)
	v_mul_f32_e32 v22, v3, v93
	v_mul_f32_e32 v23, v34, v93
	v_fmac_f32_e32 v22, v34, v92
	v_fma_f32 v92, v3, v92, -v23
	v_add_f32_e32 v23, v82, v18
	v_add_f32_e32 v3, v33, v82
	v_fmac_f32_e32 v33, -0.5, v23
	v_add_f32_e32 v23, v44, v96
	v_add_f32_e32 v34, v96, v9
	;; [unrolled: 1-line block ×3, first 2 shown]
	v_fmac_f32_e32 v44, -0.5, v34
	v_add_f32_e32 v34, v49, v97
	v_fmac_f32_e32 v49, -0.5, v93
	v_add_f32_e32 v23, v23, v9
	v_sub_f32_e32 v9, v96, v9
	v_mov_b32_e32 v93, 0x960
	v_cndmask_b32_e64 v93, 0, v93, s[0:1]
	v_sub_f32_e32 v97, v97, v4
	v_mov_b32_e32 v104, v49
	v_fmac_f32_e32 v49, 0xbf5db3d7, v9
	v_add3_u32 v93, 0, v93, v35
	v_sub_f32_e32 v35, v83, v7
	v_mov_b32_e32 v103, v44
	v_fmac_f32_e32 v104, 0x3f5db3d7, v9
	v_fmac_f32_e32 v44, 0x3f5db3d7, v97
	v_mul_f32_e32 v9, 0xbf5db3d7, v49
	v_add_f32_e32 v3, v3, v18
	v_mov_b32_e32 v96, v33
	v_fmac_f32_e32 v103, 0xbf5db3d7, v97
	v_mul_f32_e32 v105, 0xbf5db3d7, v104
	v_fmac_f32_e32 v33, 0x3f5db3d7, v35
	v_fmac_f32_e32 v9, -0.5, v44
	v_fmac_f32_e32 v96, 0xbf5db3d7, v35
	v_fmac_f32_e32 v105, 0.5, v103
	v_add_f32_e32 v106, v3, v23
	v_sub_f32_e32 v3, v3, v23
	v_add_f32_e32 v23, v33, v9
	v_add_u32_e32 v97, 0x200, v93
	s_barrier
	v_add_f32_e32 v107, v96, v105
	ds_write2_b32 v97, v23, v3 offset0:72 offset1:172
	v_sub_f32_e32 v3, v96, v105
	v_sub_f32_e32 v9, v33, v9
	v_add_u32_e32 v96, 0x400, v93
	ds_write2_b32 v96, v3, v9 offset0:144 offset1:244
	v_add_f32_e32 v9, v67, v86
	v_add_f32_e32 v23, v98, v11
	v_add_f32_e32 v3, v32, v67
	v_fmac_f32_e32 v32, -0.5, v9
	v_add_f32_e32 v9, v62, v98
	v_fmac_f32_e32 v62, -0.5, v23
	v_add_f32_e32 v23, v99, v89
	v_add_f32_e32 v105, v64, v99
	v_fmac_f32_e32 v64, -0.5, v23
	v_add_f32_e32 v9, v9, v11
	v_sub_f32_e32 v11, v98, v11
	v_sub_f32_e32 v35, v99, v89
	v_mov_b32_e32 v99, v64
	v_lshlrev_b32_sdwa v23, v26, v61 dst_sel:DWORD dst_unused:UNUSED_PAD src0_sel:DWORD src1_sel:BYTE_0
	v_mul_u32_u24_e32 v26, 0x960, v46
	v_mov_b32_e32 v98, v62
	v_fmac_f32_e32 v99, 0x3f5db3d7, v11
	v_add3_u32 v26, 0, v26, v23
	v_add_f32_e32 v3, v3, v86
	v_sub_f32_e32 v23, v68, v87
	v_mov_b32_e32 v33, v32
	v_fmac_f32_e32 v98, 0xbf5db3d7, v35
	v_mul_f32_e32 v46, 0xbf5db3d7, v99
	v_fmac_f32_e32 v64, 0xbf5db3d7, v11
	v_fmac_f32_e32 v33, 0xbf5db3d7, v23
	v_fmac_f32_e32 v46, 0.5, v98
	v_add_f32_e32 v61, v3, v9
	v_fmac_f32_e32 v62, 0x3f5db3d7, v35
	v_sub_f32_e32 v3, v3, v9
	v_mul_f32_e32 v9, 0xbf5db3d7, v64
	ds_write2_b32 v93, v106, v107 offset1:100
	v_add_f32_e32 v106, v33, v46
	v_fmac_f32_e32 v32, 0x3f5db3d7, v23
	v_fmac_f32_e32 v9, -0.5, v62
	ds_write2_b32 v26, v61, v106 offset1:100
	v_add_f32_e32 v11, v32, v9
	v_add_u32_e32 v106, 0x200, v26
	ds_write2_b32 v106, v11, v3 offset0:72 offset1:172
	v_sub_f32_e32 v3, v33, v46
	v_sub_f32_e32 v9, v32, v9
	v_add_u32_e32 v107, 0x400, v26
	ds_write2_b32 v107, v3, v9 offset0:144 offset1:244
	v_add_f32_e32 v9, v50, v84
	v_add_f32_e32 v11, v100, v5
	;; [unrolled: 1-line block ×3, first 2 shown]
	v_fmac_f32_e32 v31, -0.5, v9
	v_add_f32_e32 v9, v63, v100
	v_fmac_f32_e32 v63, -0.5, v11
	v_add_f32_e32 v11, v101, v88
	v_add_f32_e32 v108, v65, v101
	v_fmac_f32_e32 v65, -0.5, v11
	v_add_f32_e32 v9, v9, v5
	v_sub_f32_e32 v5, v100, v5
	v_mul_u32_u24_e32 v11, 0x960, v58
	v_lshlrev_b32_e32 v23, 2, v60
	v_sub_f32_e32 v32, v101, v88
	v_mov_b32_e32 v109, v65
	v_fmac_f32_e32 v65, 0xbf5db3d7, v5
	v_add3_u32 v100, 0, v11, v23
	v_sub_f32_e32 v11, v66, v85
	v_mov_b32_e32 v101, v63
	v_fmac_f32_e32 v109, 0x3f5db3d7, v5
	v_fmac_f32_e32 v63, 0x3f5db3d7, v32
	v_mul_f32_e32 v5, 0xbf5db3d7, v65
	v_add_f32_e32 v3, v3, v84
	v_mov_b32_e32 v23, v31
	v_fmac_f32_e32 v101, 0xbf5db3d7, v32
	v_mul_f32_e32 v33, 0xbf5db3d7, v109
	v_fmac_f32_e32 v31, 0x3f5db3d7, v11
	v_fmac_f32_e32 v5, -0.5, v63
	v_fmac_f32_e32 v23, 0xbf5db3d7, v11
	v_fmac_f32_e32 v33, 0.5, v101
	v_add_f32_e32 v35, v3, v9
	v_sub_f32_e32 v3, v3, v9
	v_add_f32_e32 v9, v31, v5
	v_add_u32_e32 v110, 0x200, v100
	ds_write2_b32 v110, v9, v3 offset0:72 offset1:172
	v_sub_f32_e32 v3, v23, v33
	v_sub_f32_e32 v5, v31, v5
	v_add_u32_e32 v111, 0x400, v100
	ds_write2_b32 v111, v3, v5 offset0:144 offset1:244
	v_add_f32_e32 v5, v24, v14
	v_add_f32_e32 v9, v19, v2
	;; [unrolled: 1-line block ×3, first 2 shown]
	v_fmac_f32_e32 v30, -0.5, v5
	v_add_f32_e32 v5, v17, v19
	v_fmac_f32_e32 v17, -0.5, v9
	v_add_f32_e32 v9, v10, v81
	v_add_f32_e32 v112, v20, v10
	v_fmac_f32_e32 v20, -0.5, v9
	v_add_f32_e32 v5, v5, v2
	v_sub_f32_e32 v2, v19, v2
	v_mul_u32_u24_e32 v9, 0x960, v48
	v_lshlrev_b32_e32 v11, 2, v59
	v_add_f32_e32 v3, v3, v14
	v_sub_f32_e32 v10, v10, v81
	v_mov_b32_e32 v115, v20
	v_fmac_f32_e32 v20, 0xbf5db3d7, v2
	v_add_f32_e32 v46, v23, v33
	v_add3_u32 v113, 0, v9, v11
	v_sub_f32_e32 v9, v43, v15
	v_mov_b32_e32 v114, v17
	v_fmac_f32_e32 v115, 0x3f5db3d7, v2
	v_add_f32_e32 v23, v3, v5
	v_fmac_f32_e32 v17, 0x3f5db3d7, v10
	v_sub_f32_e32 v2, v3, v5
	v_mul_f32_e32 v3, 0xbf5db3d7, v20
	v_mov_b32_e32 v11, v30
	v_fmac_f32_e32 v114, 0xbf5db3d7, v10
	v_mul_f32_e32 v19, 0xbf5db3d7, v115
	v_fmac_f32_e32 v30, 0x3f5db3d7, v9
	v_fmac_f32_e32 v3, -0.5, v17
	v_fmac_f32_e32 v11, 0xbf5db3d7, v9
	v_fmac_f32_e32 v19, 0.5, v114
	v_add_f32_e32 v5, v30, v3
	v_add_u32_e32 v116, 0x200, v113
	ds_write2_b32 v100, v35, v46 offset1:100
	ds_write2_b32 v116, v5, v2 offset0:72 offset1:172
	v_sub_f32_e32 v2, v11, v19
	v_sub_f32_e32 v3, v30, v3
	v_add_u32_e32 v117, 0x400, v113
	ds_write2_b32 v117, v2, v3 offset0:144 offset1:244
	v_add_f32_e32 v3, v21, v12
	v_add_f32_e32 v5, v8, v22
	;; [unrolled: 1-line block ×3, first 2 shown]
	v_fmac_f32_e32 v27, -0.5, v3
	v_add_f32_e32 v3, v0, v8
	v_fmac_f32_e32 v0, -0.5, v5
	v_add_f32_e32 v5, v6, v92
	v_add_f32_e32 v118, v16, v6
	v_fmac_f32_e32 v16, -0.5, v5
	v_sub_f32_e32 v5, v8, v22
	v_add_f32_e32 v3, v3, v22
	v_mul_u32_u24_e32 v8, 0x960, v45
	v_lshlrev_b32_e32 v9, 2, v47
	v_add_f32_e32 v2, v2, v12
	v_sub_f32_e32 v6, v6, v92
	v_mov_b32_e32 v121, v16
	v_fmac_f32_e32 v16, 0xbf5db3d7, v5
	v_add_f32_e32 v31, v11, v19
	v_add3_u32 v119, 0, v8, v9
	v_sub_f32_e32 v8, v25, v13
	v_mov_b32_e32 v120, v0
	v_fmac_f32_e32 v121, 0x3f5db3d7, v5
	v_add_f32_e32 v11, v2, v3
	v_fmac_f32_e32 v0, 0x3f5db3d7, v6
	v_sub_f32_e32 v2, v2, v3
	v_mul_f32_e32 v3, 0xbf5db3d7, v16
	v_mov_b32_e32 v9, v27
	v_fmac_f32_e32 v120, 0xbf5db3d7, v6
	v_mul_f32_e32 v10, 0xbf5db3d7, v121
	v_fmac_f32_e32 v27, 0x3f5db3d7, v8
	v_fmac_f32_e32 v3, -0.5, v0
	v_fmac_f32_e32 v9, 0xbf5db3d7, v8
	v_fmac_f32_e32 v10, 0.5, v120
	v_add_f32_e32 v5, v27, v3
	v_add_u32_e32 v122, 0x200, v119
	ds_write2_b32 v113, v23, v31 offset1:100
	ds_write2_b32 v122, v5, v2 offset0:72 offset1:172
	v_sub_f32_e32 v2, v9, v10
	v_sub_f32_e32 v3, v27, v3
	v_add_u32_e32 v27, 0x400, v119
	ds_write2_b32 v27, v2, v3 offset0:144 offset1:244
	v_add_f32_e32 v2, v102, v83
	v_add_f32_e32 v123, v2, v7
	;; [unrolled: 1-line block ×3, first 2 shown]
	v_fmac_f32_e32 v102, -0.5, v2
	v_sub_f32_e32 v82, v82, v18
	v_mul_f32_e32 v104, 0.5, v104
	v_mul_f32_e32 v49, -0.5, v49
	v_add_f32_e32 v83, v34, v4
	v_fmac_f32_e32 v104, 0x3f5db3d7, v103
	v_mov_b32_e32 v103, v102
	v_fmac_f32_e32 v102, 0xbf5db3d7, v82
	v_fmac_f32_e32 v49, 0x3f5db3d7, v44
	v_add_f32_e32 v19, v9, v10
	v_fmac_f32_e32 v103, 0x3f5db3d7, v82
	v_sub_f32_e32 v44, v123, v83
	v_add_f32_e32 v82, v102, v49
	ds_write2_b32 v119, v11, v19 offset1:100
	s_waitcnt lgkmcnt(0)
	s_barrier
	ds_read_b32 v58, v77
	ds_read_b32 v60, v80
	ds_read_b32 v59, v79
	ds_read_b32 v79, v57
	ds_read_b32 v61, v78
	ds_read_b32 v80, v77 offset:13920
	ds_read2_b32 v[2:3], v53 offset0:88 offset1:208
	ds_read2_b32 v[10:11], v29 offset0:56 offset1:176
	;; [unrolled: 1-line block ×12, first 2 shown]
	s_waitcnt lgkmcnt(0)
	s_barrier
	ds_write2_b32 v97, v82, v44 offset0:72 offset1:172
	v_sub_f32_e32 v44, v103, v104
	v_sub_f32_e32 v49, v102, v49
	ds_write2_b32 v96, v44, v49 offset0:144 offset1:244
	v_add_f32_e32 v49, v68, v87
	v_add_f32_e32 v44, v91, v68
	v_fmac_f32_e32 v91, -0.5, v49
	v_sub_f32_e32 v49, v67, v86
	v_mul_f32_e32 v68, 0.5, v99
	v_mov_b32_e32 v82, v91
	v_add_f32_e32 v44, v44, v87
	v_add_f32_e32 v67, v105, v89
	v_fmac_f32_e32 v68, 0x3f5db3d7, v98
	v_fmac_f32_e32 v82, 0x3f5db3d7, v49
	v_add_f32_e32 v124, v123, v83
	v_add_f32_e32 v125, v103, v104
	;; [unrolled: 1-line block ×4, first 2 shown]
	ds_write2_b32 v93, v124, v125 offset1:100
	ds_write2_b32 v26, v83, v86 offset1:100
	v_mul_f32_e32 v26, -0.5, v64
	v_fmac_f32_e32 v91, 0xbf5db3d7, v49
	v_fmac_f32_e32 v26, 0x3f5db3d7, v62
	v_sub_f32_e32 v44, v44, v67
	v_add_f32_e32 v49, v91, v26
	ds_write2_b32 v106, v49, v44 offset0:72 offset1:172
	v_sub_f32_e32 v44, v82, v68
	v_sub_f32_e32 v26, v91, v26
	ds_write2_b32 v107, v44, v26 offset0:144 offset1:244
	v_add_f32_e32 v44, v66, v85
	v_add_f32_e32 v26, v90, v66
	v_fmac_f32_e32 v90, -0.5, v44
	v_sub_f32_e32 v44, v50, v84
	v_mov_b32_e32 v62, v90
	v_fmac_f32_e32 v62, 0x3f5db3d7, v44
	v_fmac_f32_e32 v90, 0xbf5db3d7, v44
	v_mul_f32_e32 v44, -0.5, v65
	v_add_f32_e32 v26, v26, v85
	v_add_f32_e32 v49, v108, v88
	v_mul_f32_e32 v50, 0.5, v109
	v_fmac_f32_e32 v44, 0x3f5db3d7, v63
	v_fmac_f32_e32 v50, 0x3f5db3d7, v101
	v_add_f32_e32 v64, v26, v49
	v_sub_f32_e32 v26, v26, v49
	v_add_f32_e32 v49, v90, v44
	ds_write2_b32 v110, v49, v26 offset0:72 offset1:172
	v_sub_f32_e32 v26, v62, v50
	v_sub_f32_e32 v44, v90, v44
	ds_write2_b32 v111, v26, v44 offset0:144 offset1:244
	v_add_f32_e32 v26, v95, v43
	v_add_f32_e32 v26, v26, v15
	;; [unrolled: 1-line block ×4, first 2 shown]
	v_fmac_f32_e32 v95, -0.5, v15
	v_add_f32_e32 v43, v43, v13
	v_add_f32_e32 v13, v25, v13
	v_sub_f32_e32 v14, v24, v14
	v_mov_b32_e32 v15, v95
	v_mul_f32_e32 v24, 0.5, v115
	v_fmac_f32_e32 v94, -0.5, v13
	v_fmac_f32_e32 v15, 0x3f5db3d7, v14
	v_fmac_f32_e32 v95, 0xbf5db3d7, v14
	v_add_f32_e32 v14, v112, v81
	v_fmac_f32_e32 v24, 0x3f5db3d7, v114
	v_mul_f32_e32 v20, -0.5, v20
	v_sub_f32_e32 v12, v21, v12
	v_mov_b32_e32 v13, v94
	v_mul_f32_e32 v21, 0.5, v121
	v_mul_f32_e32 v16, -0.5, v16
	v_add_f32_e32 v66, v62, v50
	v_fmac_f32_e32 v20, 0x3f5db3d7, v17
	v_add_f32_e32 v17, v26, v14
	v_sub_f32_e32 v14, v26, v14
	v_add_f32_e32 v26, v15, v24
	v_fmac_f32_e32 v13, 0x3f5db3d7, v12
	v_fmac_f32_e32 v94, 0xbf5db3d7, v12
	v_add_f32_e32 v12, v118, v92
	v_fmac_f32_e32 v21, 0x3f5db3d7, v120
	s_movk_i32 s0, 0x1000
	v_fmac_f32_e32 v16, 0x3f5db3d7, v0
	ds_write2_b32 v100, v64, v66 offset1:100
	v_sub_f32_e32 v15, v15, v24
	v_add_f32_e32 v24, v95, v20
	v_sub_f32_e32 v20, v95, v20
	v_add_f32_e32 v0, v43, v12
	v_sub_f32_e32 v12, v43, v12
	v_add_f32_e32 v25, v13, v21
	v_sub_f32_e32 v13, v13, v21
	v_add_f32_e32 v21, v94, v16
	v_sub_f32_e32 v16, v94, v16
	ds_write2_b32 v113, v17, v26 offset1:100
	ds_write2_b32 v116, v24, v14 offset0:72 offset1:172
	ds_write2_b32 v117, v15, v20 offset0:144 offset1:244
	ds_write2_b32 v119, v0, v25 offset1:100
	ds_write2_b32 v122, v21, v12 offset0:72 offset1:172
	ds_write2_b32 v27, v13, v16 offset0:144 offset1:244
	s_waitcnt lgkmcnt(0)
	s_barrier
	s_and_saveexec_b64 s[6:7], vcc
	s_cbranch_execz .LBB0_15
; %bb.14:
	v_mul_i32_i24_e32 v0, 5, v73
	v_lshlrev_b64 v[12:13], 3, v[0:1]
	v_mov_b32_e32 v62, s13
	v_add_co_u32_e32 v0, vcc, s12, v12
	v_addc_co_u32_e32 v17, vcc, v62, v13, vcc
	v_add_co_u32_e32 v12, vcc, s0, v0
	s_movk_i32 s1, 0x1270
	v_addc_co_u32_e32 v13, vcc, 0, v17, vcc
	v_add_co_u32_e32 v16, vcc, s1, v0
	global_load_dwordx4 v[12:15], v[12:13], off offset:624
	v_addc_co_u32_e32 v17, vcc, 0, v17, vcc
	global_load_dwordx4 v[65:68], v[16:17], off offset:16
	global_load_dwordx2 v[20:21], v[16:17], off offset:32
	v_mul_i32_i24_e32 v0, 5, v71
	v_lshlrev_b64 v[16:17], 3, v[0:1]
	v_mul_lo_u32 v24, s5, v38
	v_add_co_u32_e32 v0, vcc, s12, v16
	v_addc_co_u32_e32 v71, vcc, v62, v17, vcc
	v_add_co_u32_e32 v16, vcc, s0, v0
	v_addc_co_u32_e32 v17, vcc, 0, v71, vcc
	v_mul_lo_u32 v25, s4, v39
	v_mad_u64_u32 v[26:27], s[4:5], s4, v38, 0
	ds_read2_b32 v[38:39], v42 offset0:24 offset1:144
	ds_read2_b32 v[49:50], v41 offset0:72 offset1:192
	;; [unrolled: 1-line block ×4, first 2 shown]
	ds_read_b32 v28, v57
	ds_read_b32 v57, v78
	ds_read_b32 v29, v77 offset:13920
	ds_read_b32 v95, v77
	global_load_dwordx4 v[81:84], v[16:17], off offset:624
	v_add_co_u32_e32 v16, vcc, s1, v0
	v_addc_co_u32_e32 v17, vcc, 0, v71, vcc
	v_add3_u32 v27, v27, v25, v24
	global_load_dwordx2 v[89:90], v[16:17], off offset:32
	global_load_dwordx4 v[85:88], v[16:17], off offset:16
	v_mul_i32_i24_e32 v64, 0xffffffdc, v72
	v_mul_i32_i24_e32 v63, 0xffffffdc, v70
	s_waitcnt vmcnt(5)
	v_mul_f32_e32 v0, v48, v15
	s_waitcnt lgkmcnt(7)
	v_mul_f32_e32 v16, v39, v15
	s_waitcnt lgkmcnt(5)
	v_mul_f32_e32 v24, v13, v41
	v_mul_f32_e32 v13, v10, v13
	v_fma_f32 v0, v14, v39, -v0
	v_fmac_f32_e32 v16, v48, v14
	v_fmac_f32_e32 v24, v10, v12
	s_waitcnt vmcnt(4) lgkmcnt(4)
	v_mul_f32_e32 v10, v66, v43
	v_mul_f32_e32 v14, v8, v66
	s_waitcnt vmcnt(3)
	v_mul_f32_e32 v17, v80, v21
	v_mul_f32_e32 v25, v50, v68
	v_fmac_f32_e32 v10, v8, v65
	v_fma_f32 v8, v65, v43, -v14
	s_waitcnt lgkmcnt(1)
	v_fma_f32 v14, v20, v29, -v17
	v_mul_f32_e32 v39, v21, v29
	v_fma_f32 v12, v12, v41, -v13
	v_fmac_f32_e32 v25, v46, v67
	v_add_f32_e32 v29, v8, v14
	v_mul_f32_e32 v15, v46, v68
	v_fmac_f32_e32 v39, v80, v20
	v_sub_f32_e32 v20, v8, v14
	v_fma_f32 v29, -0.5, v29, v12
	v_add_f32_e32 v8, v12, v8
	v_add_f32_e32 v12, v16, v25
	v_fma_f32 v21, v67, v50, -v15
	v_add_f32_e32 v17, v10, v39
	v_sub_f32_e32 v41, v10, v39
	v_fma_f32 v66, -0.5, v12, v79
	v_add_f32_e32 v13, v0, v21
	v_fma_f32 v46, -0.5, v17, v24
	v_mov_b32_e32 v65, v29
	v_fmac_f32_e32 v29, 0x3f5db3d7, v41
	v_add_f32_e32 v17, v28, v0
	v_sub_f32_e32 v0, v0, v21
	v_mov_b32_e32 v67, v66
	v_mov_b32_e32 v50, v46
	v_fmac_f32_e32 v46, 0xbf5db3d7, v20
	v_fmac_f32_e32 v67, 0x3f5db3d7, v0
	;; [unrolled: 1-line block ×3, first 2 shown]
	v_mul_f32_e32 v0, 0xbf5db3d7, v29
	v_fmac_f32_e32 v65, 0xbf5db3d7, v41
	v_fmac_f32_e32 v0, 0.5, v46
	v_sub_f32_e32 v15, v16, v25
	v_fma_f32 v43, -0.5, v13, v28
	v_fmac_f32_e32 v50, 0x3f5db3d7, v20
	v_mul_f32_e32 v20, 0.5, v29
	v_mul_f32_e32 v41, -0.5, v65
	v_add_f32_e32 v28, v17, v21
	v_add_f32_e32 v8, v8, v14
	v_mul_f32_e32 v65, 0xbf5db3d7, v65
	v_sub_f32_e32 v14, v66, v0
	v_add_f32_e32 v10, v24, v10
	v_add_f32_e32 v24, v66, v0
	s_waitcnt vmcnt(2)
	v_mul_f32_e32 v0, v47, v84
	v_mov_b32_e32 v48, v43
	v_fmac_f32_e32 v43, 0x3f5db3d7, v15
	v_fmac_f32_e32 v20, 0x3f5db3d7, v46
	v_sub_f32_e32 v17, v28, v8
	v_fmac_f32_e32 v65, -0.5, v50
	v_add_f32_e32 v16, v79, v16
	v_add_f32_e32 v29, v28, v8
	v_fma_f32 v8, v83, v38, -v0
	v_mul_i32_i24_e32 v0, 5, v72
	v_fmac_f32_e32 v48, 0xbf5db3d7, v15
	v_sub_f32_e32 v15, v43, v20
	v_sub_f32_e32 v12, v67, v65
	v_add_f32_e32 v46, v16, v25
	v_add_f32_e32 v25, v43, v20
	;; [unrolled: 1-line block ×3, first 2 shown]
	v_lshlrev_b64 v[65:66], 3, v[0:1]
	v_add_f32_e32 v10, v10, v39
	v_add_co_u32_e32 v0, vcc, s12, v65
	v_sub_f32_e32 v16, v46, v10
	v_add_f32_e32 v28, v46, v10
	v_addc_co_u32_e32 v10, vcc, v62, v66, vcc
	v_add_co_u32_e32 v71, vcc, s1, v0
	v_addc_co_u32_e32 v72, vcc, 0, v10, vcc
	v_add_co_u32_e32 v91, vcc, s0, v0
	v_addc_co_u32_e32 v92, vcc, 0, v10, vcc
	global_load_dwordx4 v[65:68], v[91:92], off offset:624
	global_load_dwordx2 v[93:94], v[71:72], off offset:32
	global_load_dwordx4 v[77:80], v[71:72], off offset:16
	v_mul_f32_e32 v43, v38, v84
	s_waitcnt vmcnt(3)
	v_mul_f32_e32 v0, v45, v88
	v_fmac_f32_e32 v43, v47, v83
	v_mul_f32_e32 v47, v49, v88
	v_fma_f32 v0, v87, v49, -v0
	v_fmac_f32_e32 v47, v45, v87
	ds_read2_b32 v[87:88], v51 offset0:120 offset1:240
	ds_read2_b32 v[91:92], v52 offset0:40 offset1:160
	;; [unrolled: 1-line block ×3, first 2 shown]
	v_fmac_f32_e32 v41, 0x3f5db3d7, v50
	v_add_f32_e32 v10, v8, v0
	s_waitcnt lgkmcnt(2)
	v_mul_f32_e32 v49, v86, v88
	s_waitcnt lgkmcnt(1)
	v_mul_f32_e32 v50, v90, v92
	;; [unrolled: 2-line block ×3, first 2 shown]
	v_fmac_f32_e32 v49, v35, v85
	v_fmac_f32_e32 v50, v33, v89
	v_mul_f32_e32 v35, v35, v86
	v_mul_f32_e32 v33, v33, v90
	v_fmac_f32_e32 v45, v31, v81
	v_add_f32_e32 v39, v49, v50
	v_fma_f32 v35, v85, v88, -v35
	v_fma_f32 v33, v89, v92, -v33
	v_mul_f32_e32 v31, v31, v82
	v_fma_f32 v40, -0.5, v39, v45
	v_fma_f32 v31, v81, v84, -v31
	v_add_f32_e32 v39, v35, v33
	v_fma_f32 v10, -0.5, v10, v57
	v_fma_f32 v52, -0.5, v39, v31
	v_add_f32_e32 v31, v31, v35
	v_sub_f32_e32 v13, v48, v41
	v_add_f32_e32 v21, v48, v41
	v_sub_f32_e32 v38, v43, v47
	v_mov_b32_e32 v48, v10
	v_sub_f32_e32 v41, v35, v33
	v_add_f32_e32 v31, v31, v33
	v_add_f32_e32 v33, v43, v47
	v_fmac_f32_e32 v48, 0xbf5db3d7, v38
	v_sub_f32_e32 v46, v49, v50
	v_mov_b32_e32 v71, v52
	v_fmac_f32_e32 v10, 0x3f5db3d7, v38
	v_add_f32_e32 v38, v57, v8
	v_fma_f32 v33, -0.5, v33, v61
	v_mov_b32_e32 v51, v40
	v_fmac_f32_e32 v71, 0xbf5db3d7, v46
	v_fmac_f32_e32 v52, 0x3f5db3d7, v46
	v_add_f32_e32 v57, v38, v0
	v_sub_f32_e32 v0, v8, v0
	v_mov_b32_e32 v8, v33
	v_fmac_f32_e32 v51, 0x3f5db3d7, v41
	v_fmac_f32_e32 v40, 0xbf5db3d7, v41
	;; [unrolled: 1-line block ×3, first 2 shown]
	v_mul_f32_e32 v35, 0xbf5db3d7, v71
	v_fmac_f32_e32 v33, 0xbf5db3d7, v0
	v_mul_f32_e32 v0, 0xbf5db3d7, v52
	ds_read2_b32 v[84:85], v55 offset0:40 offset1:160
	v_mul_f32_e32 v73, 0.5, v52
	v_fmac_f32_e32 v35, -0.5, v51
	v_fmac_f32_e32 v0, 0.5, v40
	v_add_f32_e32 v43, v61, v43
	v_fmac_f32_e32 v73, 0x3f5db3d7, v40
	v_sub_f32_e32 v38, v8, v35
	v_sub_f32_e32 v40, v33, v0
	v_add_f32_e32 v43, v43, v47
	v_add_f32_e32 v45, v45, v49
	;; [unrolled: 1-line block ×4, first 2 shown]
	v_add_u32_e32 v0, v75, v64
	ds_read2_b32 v[55:56], v56 offset0:88 offset1:208
	ds_read_b32 v8, v0
	v_mul_f32_e32 v72, -0.5, v71
	v_fmac_f32_e32 v72, 0x3f5db3d7, v51
	v_sub_f32_e32 v41, v10, v73
	v_add_f32_e32 v51, v45, v50
	v_add_f32_e32 v50, v10, v73
	v_sub_f32_e32 v45, v43, v51
	v_add_f32_e32 v51, v43, v51
	v_sub_f32_e32 v46, v57, v31
	v_add_f32_e32 v52, v57, v31
	s_waitcnt vmcnt(2)
	v_mul_f32_e32 v0, v23, v68
	s_waitcnt lgkmcnt(2)
	v_fma_f32 v10, v67, v85, -v0
	s_waitcnt vmcnt(0)
	v_mul_f32_e32 v0, v19, v80
	s_waitcnt lgkmcnt(1)
	v_fma_f32 v35, v79, v56, -v0
	v_add_f32_e32 v0, v10, v35
	s_waitcnt lgkmcnt(0)
	v_fma_f32 v43, -0.5, v0, v8
	v_mul_i32_i24_e32 v0, 5, v70
	v_lshlrev_b64 v[0:1], 3, v[0:1]
	v_mul_f32_e32 v61, v85, v68
	v_add_co_u32_e32 v31, vcc, s12, v0
	v_addc_co_u32_e32 v33, vcc, v62, v1, vcc
	v_add_co_u32_e32 v0, vcc, s1, v31
	v_addc_co_u32_e32 v1, vcc, 0, v33, vcc
	v_fmac_f32_e32 v61, v23, v67
	v_mul_f32_e32 v23, v56, v80
	v_add_co_u32_e32 v56, vcc, s0, v31
	v_addc_co_u32_e32 v57, vcc, 0, v33, vcc
	v_sub_f32_e32 v39, v48, v72
	v_add_f32_e32 v48, v48, v72
	v_fmac_f32_e32 v23, v19, v79
	global_load_dwordx4 v[70:73], v[56:57], off offset:624
	global_load_dwordx2 v[85:86], v[0:1], off offset:32
	global_load_dwordx4 v[79:82], v[0:1], off offset:16
	v_mul_f32_e32 v57, v78, v87
	v_mul_f32_e32 v67, v94, v91
	;; [unrolled: 1-line block ×3, first 2 shown]
	v_fmac_f32_e32 v57, v34, v77
	v_fmac_f32_e32 v67, v32, v93
	;; [unrolled: 1-line block ×3, first 2 shown]
	v_add_f32_e32 v0, v57, v67
	v_mul_f32_e32 v1, v32, v94
	v_fma_f32 v68, -0.5, v0, v56
	v_mul_f32_e32 v0, v34, v78
	v_fma_f32 v32, v93, v91, -v1
	v_mul_f32_e32 v1, v30, v66
	v_fma_f32 v0, v77, v87, -v0
	v_fma_f32 v30, v65, v83, -v1
	v_sub_f32_e32 v31, v0, v32
	v_add_f32_e32 v1, v0, v32
	v_add_f32_e32 v0, v30, v0
	;; [unrolled: 1-line block ×4, first 2 shown]
	v_fma_f32 v65, -0.5, v1, v30
	v_sub_f32_e32 v33, v57, v67
	v_fma_f32 v83, -0.5, v0, v60
	v_mov_b32_e32 v66, v65
	v_fmac_f32_e32 v65, 0x3f5db3d7, v33
	v_add_f32_e32 v8, v8, v10
	v_sub_f32_e32 v10, v10, v35
	v_mov_b32_e32 v87, v83
	v_mov_b32_e32 v34, v68
	v_fmac_f32_e32 v68, 0xbf5db3d7, v31
	v_fmac_f32_e32 v87, 0x3f5db3d7, v10
	;; [unrolled: 1-line block ×3, first 2 shown]
	v_mul_f32_e32 v10, 0xbf5db3d7, v65
	v_fmac_f32_e32 v10, 0.5, v68
	v_add_f32_e32 v32, v60, v61
	v_sub_f32_e32 v19, v61, v23
	v_mov_b32_e32 v64, v43
	v_sub_f32_e32 v30, v83, v10
	v_add_f32_e32 v23, v32, v23
	v_add_f32_e32 v32, v56, v57
	;; [unrolled: 1-line block ×3, first 2 shown]
	v_mul_u32_u24_e32 v10, 5, v69
	v_fmac_f32_e32 v64, 0xbf5db3d7, v19
	v_fmac_f32_e32 v43, 0x3f5db3d7, v19
	v_mul_f32_e32 v19, 0.5, v65
	v_lshlrev_b32_e32 v10, 3, v10
	v_fmac_f32_e32 v19, 0x3f5db3d7, v68
	v_add_co_u32_e32 v10, vcc, s12, v10
	v_fmac_f32_e32 v34, 0x3f5db3d7, v31
	v_sub_f32_e32 v31, v43, v19
	v_add_f32_e32 v8, v8, v35
	v_add_f32_e32 v60, v32, v67
	;; [unrolled: 1-line block ×3, first 2 shown]
	v_addc_co_u32_e32 v19, vcc, 0, v62, vcc
	v_fmac_f32_e32 v66, 0xbf5db3d7, v33
	v_sub_f32_e32 v33, v8, v77
	v_sub_f32_e32 v32, v23, v60
	v_add_f32_e32 v78, v8, v77
	v_add_f32_e32 v77, v23, v60
	v_add_co_u32_e32 v60, vcc, s0, v10
	v_mul_f32_e32 v75, -0.5, v66
	v_addc_co_u32_e32 v61, vcc, 0, v19, vcc
	v_fmac_f32_e32 v75, 0x3f5db3d7, v34
	v_mul_f32_e32 v66, 0xbf5db3d7, v66
	v_add_u32_e32 v8, v74, v63
	global_load_dwordx4 v[60:63], v[60:61], off offset:624
	v_add_co_u32_e32 v74, vcc, s1, v10
	v_sub_f32_e32 v1, v64, v75
	v_fmac_f32_e32 v66, -0.5, v34
	v_add_f32_e32 v35, v64, v75
	v_addc_co_u32_e32 v75, vcc, 0, v19, vcc
	ds_read_b32 v10, v8
	s_waitcnt vmcnt(3)
	v_mul_f32_e32 v8, v22, v73
	v_sub_f32_e32 v0, v87, v66
	v_add_f32_e32 v34, v87, v66
	global_load_dwordx4 v[64:67], v[74:75], off offset:16
	v_fma_f32 v43, v72, v84, -v8
	v_mul_f32_e32 v84, v84, v73
	v_fmac_f32_e32 v84, v22, v72
	global_load_dwordx2 v[22:23], v[74:75], off offset:32
	s_waitcnt vmcnt(3)
	v_mul_f32_e32 v8, v18, v82
	v_mul_f32_e32 v82, v55, v82
	v_fmac_f32_e32 v82, v18, v81
	ds_read2_b32 v[18:19], v53 offset0:88 offset1:208
	ds_read2_b32 v[72:73], v76 offset0:8 offset1:128
	ds_read2_b32 v[53:54], v54 offset0:56 offset1:176
	v_fma_f32 v68, v81, v55, -v8
	v_add_f32_e32 v8, v43, v68
	s_waitcnt lgkmcnt(2)
	v_mul_f32_e32 v74, v71, v19
	s_waitcnt lgkmcnt(1)
	v_mul_f32_e32 v75, v80, v73
	;; [unrolled: 2-line block ×3, first 2 shown]
	v_fmac_f32_e32 v75, v5, v79
	v_fmac_f32_e32 v76, v7, v85
	v_mul_f32_e32 v5, v5, v80
	v_mul_f32_e32 v7, v7, v86
	v_fma_f32 v83, -0.5, v8, v10
	v_fmac_f32_e32 v74, v3, v70
	v_add_f32_e32 v8, v75, v76
	v_fma_f32 v5, v79, v73, -v5
	v_fma_f32 v7, v85, v54, -v7
	v_mul_f32_e32 v3, v3, v71
	v_fma_f32 v87, -0.5, v8, v74
	v_fma_f32 v3, v70, v19, -v3
	v_add_f32_e32 v8, v5, v7
	v_fma_f32 v19, -0.5, v8, v3
	v_sub_f32_e32 v70, v75, v76
	v_mov_b32_e32 v79, v19
	v_sub_f32_e32 v54, v5, v7
	v_mov_b32_e32 v73, v87
	v_fmac_f32_e32 v79, 0xbf5db3d7, v70
	v_add_f32_e32 v3, v3, v5
	v_add_f32_e32 v5, v84, v82
	v_sub_f32_e32 v55, v84, v82
	v_mov_b32_e32 v81, v83
	v_fmac_f32_e32 v73, 0x3f5db3d7, v54
	v_mul_f32_e32 v80, -0.5, v79
	v_add_f32_e32 v10, v10, v43
	v_fma_f32 v5, -0.5, v5, v59
	v_fmac_f32_e32 v81, 0xbf5db3d7, v55
	v_fmac_f32_e32 v80, 0x3f5db3d7, v73
	;; [unrolled: 1-line block ×3, first 2 shown]
	v_add_f32_e32 v10, v10, v68
	v_add_f32_e32 v3, v3, v7
	v_sub_f32_e32 v43, v43, v68
	v_mov_b32_e32 v68, v5
	v_sub_f32_e32 v8, v81, v80
	v_fmac_f32_e32 v87, 0xbf5db3d7, v54
	v_mul_f32_e32 v85, 0.5, v19
	v_sub_f32_e32 v71, v10, v3
	v_fmac_f32_e32 v68, 0x3f5db3d7, v43
	v_fmac_f32_e32 v5, 0xbf5db3d7, v43
	v_mul_f32_e32 v19, 0xbf5db3d7, v19
	v_add_f32_e32 v43, v59, v84
	v_add_f32_e32 v59, v74, v75
	;; [unrolled: 1-line block ×4, first 2 shown]
	v_mul_f32_e32 v79, 0xbf5db3d7, v79
	v_fmac_f32_e32 v19, 0.5, v87
	v_fmac_f32_e32 v79, -0.5, v73
	v_sub_f32_e32 v54, v5, v19
	v_add_f32_e32 v43, v43, v82
	v_add_f32_e32 v59, v59, v76
	;; [unrolled: 1-line block ×3, first 2 shown]
	s_waitcnt vmcnt(2)
	v_mul_f32_e32 v3, v11, v63
	v_fma_f32 v3, v62, v42, -v3
	v_mul_f32_e32 v42, v42, v63
	v_fmac_f32_e32 v42, v11, v62
	v_sub_f32_e32 v7, v68, v79
	v_sub_f32_e32 v70, v43, v59
	v_add_f32_e32 v73, v68, v79
	v_add_f32_e32 v79, v43, v59
	v_mul_f32_e32 v62, v61, v18
	v_fmac_f32_e32 v62, v2, v60
	v_mul_f32_e32 v2, v2, v61
	v_fma_f32 v2, v60, v18, -v2
	s_waitcnt vmcnt(1)
	v_mul_f32_e32 v5, v9, v67
	v_mul_f32_e32 v11, v44, v67
	v_fma_f32 v43, v66, v44, -v5
	v_fmac_f32_e32 v11, v9, v66
	v_mul_f32_e32 v63, v65, v72
	s_waitcnt vmcnt(0)
	v_mul_f32_e32 v66, v23, v53
	v_add_f32_e32 v5, v3, v43
	v_fmac_f32_e32 v63, v4, v64
	v_fmac_f32_e32 v66, v6, v22
	v_fma_f32 v59, -0.5, v5, v95
	v_add_f32_e32 v5, v63, v66
	v_fma_f32 v67, -0.5, v5, v62
	v_mul_f32_e32 v4, v4, v65
	v_mul_f32_e32 v5, v6, v23
	v_fma_f32 v4, v64, v72, -v4
	v_fma_f32 v6, v22, v53, -v5
	v_add_f32_e32 v5, v4, v6
	v_sub_f32_e32 v10, v4, v6
	v_fma_f32 v18, -0.5, v5, v2
	v_add_f32_e32 v2, v2, v4
	v_add_f32_e32 v4, v42, v11
	v_sub_f32_e32 v9, v42, v11
	v_mov_b32_e32 v44, v59
	v_add_f32_e32 v2, v2, v6
	v_fma_f32 v6, -0.5, v4, v58
	v_fmac_f32_e32 v44, 0xbf5db3d7, v9
	v_fmac_f32_e32 v59, 0x3f5db3d7, v9
	v_add_f32_e32 v9, v95, v3
	v_sub_f32_e32 v3, v3, v43
	v_mov_b32_e32 v64, v6
	v_fmac_f32_e32 v64, 0x3f5db3d7, v3
	v_fmac_f32_e32 v6, 0xbf5db3d7, v3
	v_add_f32_e32 v3, v58, v42
	s_mov_b32 s0, 0x1b4e81b5
	v_add_f32_e32 v11, v3, v11
	v_mul_hi_u32 v3, v69, s0
	v_sub_f32_e32 v19, v63, v66
	v_mov_b32_e32 v23, v18
	v_fmac_f32_e32 v18, 0x3f5db3d7, v19
	v_lshrrev_b32_e32 v3, 6, v3
	v_mov_b32_e32 v22, v67
	v_fmac_f32_e32 v23, 0xbf5db3d7, v19
	v_mul_f32_e32 v60, 0.5, v18
	v_mul_f32_e32 v68, 0xbf5db3d7, v18
	v_add_f32_e32 v18, v62, v63
	v_mul_u32_u24_e32 v3, 0x258, v3
	v_fmac_f32_e32 v22, 0x3f5db3d7, v10
	v_mul_f32_e32 v53, -0.5, v23
	v_mul_f32_e32 v65, 0xbf5db3d7, v23
	v_add_f32_e32 v62, v18, v66
	v_sub_u32_e32 v66, v69, v3
	v_fmac_f32_e32 v53, 0x3f5db3d7, v22
	v_fmac_f32_e32 v65, -0.5, v22
	v_mad_u64_u32 v[22:23], s[4:5], s2, v66, 0
	v_add_f32_e32 v61, v9, v43
	v_sub_f32_e32 v19, v61, v2
	v_add_f32_e32 v61, v61, v2
	v_mov_b32_e32 v2, v23
	v_mad_u64_u32 v[2:3], s[4:5], s3, v66, v[2:3]
	v_fmac_f32_e32 v67, 0xbf5db3d7, v10
	v_fmac_f32_e32 v60, 0x3f5db3d7, v67
	v_mov_b32_e32 v23, v2
	v_lshlrev_b64 v[2:3], 3, v[26:27]
	v_fmac_f32_e32 v68, 0.5, v67
	v_sub_f32_e32 v10, v59, v60
	v_sub_f32_e32 v9, v6, v68
	;; [unrolled: 1-line block ×3, first 2 shown]
	v_add_f32_e32 v59, v59, v60
	v_add_f32_e32 v58, v6, v68
	;; [unrolled: 1-line block ×3, first 2 shown]
	v_mov_b32_e32 v6, s11
	v_add_co_u32_e32 v11, vcc, s10, v2
	v_addc_co_u32_e32 v6, vcc, v6, v3, vcc
	v_lshlrev_b64 v[2:3], 3, v[36:37]
	v_lshlrev_b64 v[22:23], 3, v[22:23]
	v_add_co_u32_e32 v2, vcc, v11, v2
	v_add_u32_e32 v11, 0x258, v66
	v_mad_u64_u32 v[26:27], s[4:5], s2, v11, 0
	v_addc_co_u32_e32 v3, vcc, v6, v3, vcc
	v_mov_b32_e32 v6, v27
	v_mad_u64_u32 v[36:37], s[4:5], s3, v11, v[6:7]
	v_add_u32_e32 v11, 0x4b0, v66
	v_mad_u64_u32 v[62:63], s[4:5], s2, v11, 0
	v_add_co_u32_e32 v22, vcc, v2, v22
	v_addc_co_u32_e32 v23, vcc, v3, v23, vcc
	v_mov_b32_e32 v27, v36
	v_mov_b32_e32 v6, v63
	global_store_dwordx2 v[22:23], v[60:61], off
	v_lshlrev_b64 v[22:23], 3, v[26:27]
	v_mad_u64_u32 v[26:27], s[4:5], s3, v11, v[6:7]
	v_add_u32_e32 v11, 0x708, v66
	v_add_co_u32_e32 v22, vcc, v2, v22
	v_mov_b32_e32 v63, v26
	v_mad_u64_u32 v[26:27], s[4:5], s2, v11, 0
	v_addc_co_u32_e32 v23, vcc, v3, v23, vcc
	v_mov_b32_e32 v6, v27
	v_mad_u64_u32 v[36:37], s[4:5], s3, v11, v[6:7]
	global_store_dwordx2 v[22:23], v[58:59], off
	v_lshlrev_b64 v[22:23], 3, v[62:63]
	v_add_u32_e32 v11, 0x960, v66
	v_add_co_u32_e32 v22, vcc, v2, v22
	v_mad_u64_u32 v[58:59], s[4:5], s2, v11, 0
	v_add_f32_e32 v43, v44, v53
	v_add_f32_e32 v42, v64, v65
	v_addc_co_u32_e32 v23, vcc, v3, v23, vcc
	v_mov_b32_e32 v27, v36
	global_store_dwordx2 v[22:23], v[42:43], off
	v_lshlrev_b64 v[22:23], 3, v[26:27]
	v_mov_b32_e32 v6, v59
	v_add_co_u32_e32 v22, vcc, v2, v22
	v_mad_u64_u32 v[26:27], s[4:5], s3, v11, v[6:7]
	v_addc_co_u32_e32 v23, vcc, v3, v23, vcc
	v_add_u32_e32 v11, 0xbb8, v66
	global_store_dwordx2 v[22:23], v[18:19], off
	v_mad_u64_u32 v[22:23], s[4:5], s2, v11, 0
	v_add_u32_e32 v36, 0x78, v69
	v_mul_hi_u32 v37, v36, s0
	v_mov_b32_e32 v6, v23
	v_mov_b32_e32 v59, v26
	v_mad_u64_u32 v[26:27], s[4:5], s3, v11, v[6:7]
	v_lshlrev_b64 v[18:19], 3, v[58:59]
	v_lshrrev_b32_e32 v6, 6, v37
	v_add_co_u32_e32 v18, vcc, v2, v18
	v_addc_co_u32_e32 v19, vcc, v3, v19, vcc
	v_mul_u32_u24_e32 v11, 0x258, v6
	v_mov_b32_e32 v23, v26
	v_sub_u32_e32 v11, v36, v11
	s_movk_i32 s1, 0xe10
	global_store_dwordx2 v[18:19], v[9:10], off
	v_lshlrev_b64 v[9:10], 3, v[22:23]
	v_mad_u32_u24 v27, v6, s1, v11
	v_mad_u64_u32 v[36:37], s[4:5], s2, v27, 0
	v_add_co_u32_e32 v9, vcc, v2, v9
	v_sub_f32_e32 v5, v44, v53
	v_sub_f32_e32 v4, v64, v65
	v_addc_co_u32_e32 v10, vcc, v3, v10, vcc
	v_add_u32_e32 v11, 0x258, v27
	global_store_dwordx2 v[9:10], v[4:5], off
	v_mad_u64_u32 v[9:10], s[4:5], s2, v11, 0
	v_mov_b32_e32 v6, v37
	v_mad_u64_u32 v[18:19], s[4:5], s3, v27, v[6:7]
	v_mov_b32_e32 v6, v10
	v_mad_u64_u32 v[10:11], s[4:5], s3, v11, v[6:7]
	v_add_u32_e32 v11, 0x4b0, v27
	v_mov_b32_e32 v37, v18
	v_mad_u64_u32 v[18:19], s[4:5], s2, v11, 0
	v_lshlrev_b64 v[4:5], 3, v[36:37]
	v_fmac_f32_e32 v83, 0x3f5db3d7, v55
	v_add_co_u32_e32 v4, vcc, v2, v4
	v_addc_co_u32_e32 v5, vcc, v3, v5, vcc
	v_mov_b32_e32 v6, v19
	global_store_dwordx2 v[4:5], v[79:80], off
	v_lshlrev_b64 v[4:5], 3, v[9:10]
	v_mad_u64_u32 v[9:10], s[4:5], s3, v11, v[6:7]
	v_add_u32_e32 v11, 0x708, v27
	v_fmac_f32_e32 v85, 0x3f5db3d7, v87
	v_mov_b32_e32 v19, v9
	v_mad_u64_u32 v[9:10], s[4:5], s2, v11, 0
	v_add_co_u32_e32 v4, vcc, v2, v4
	v_mov_b32_e32 v6, v10
	v_mad_u64_u32 v[10:11], s[4:5], s3, v11, v[6:7]
	v_add_f32_e32 v76, v83, v85
	v_addc_co_u32_e32 v5, vcc, v3, v5, vcc
	v_add_u32_e32 v11, 0x960, v27
	global_store_dwordx2 v[4:5], v[75:76], off
	v_lshlrev_b64 v[4:5], 3, v[18:19]
	v_mad_u64_u32 v[18:19], s[4:5], s2, v11, 0
	v_add_co_u32_e32 v4, vcc, v2, v4
	v_addc_co_u32_e32 v5, vcc, v3, v5, vcc
	v_mov_b32_e32 v6, v19
	global_store_dwordx2 v[4:5], v[73:74], off
	v_lshlrev_b64 v[4:5], 3, v[9:10]
	v_mad_u64_u32 v[9:10], s[4:5], s3, v11, v[6:7]
	v_add_co_u32_e32 v4, vcc, v2, v4
	v_addc_co_u32_e32 v5, vcc, v3, v5, vcc
	v_mov_b32_e32 v19, v9
	v_add_u32_e32 v11, 0xbb8, v27
	global_store_dwordx2 v[4:5], v[70:71], off
	v_lshlrev_b64 v[4:5], 3, v[18:19]
	v_mad_u64_u32 v[9:10], s[4:5], s2, v11, 0
	v_add_u32_e32 v18, 0xf0, v69
	v_mul_hi_u32 v19, v18, s0
	v_mov_b32_e32 v6, v10
	v_mad_u64_u32 v[10:11], s[4:5], s3, v11, v[6:7]
	v_lshrrev_b32_e32 v6, 6, v19
	v_mul_u32_u24_e32 v11, 0x258, v6
	v_add_co_u32_e32 v4, vcc, v2, v4
	v_sub_u32_e32 v11, v18, v11
	v_sub_f32_e32 v55, v83, v85
	v_addc_co_u32_e32 v5, vcc, v3, v5, vcc
	v_mad_u32_u24 v11, v6, s1, v11
	v_mad_u64_u32 v[18:19], s[4:5], s2, v11, 0
	global_store_dwordx2 v[4:5], v[54:55], off
	v_lshlrev_b64 v[4:5], 3, v[9:10]
	v_mov_b32_e32 v6, v19
	v_add_co_u32_e32 v4, vcc, v2, v4
	v_addc_co_u32_e32 v5, vcc, v3, v5, vcc
	global_store_dwordx2 v[4:5], v[7:8], off
	v_add_u32_e32 v8, 0x258, v11
	v_mad_u64_u32 v[9:10], s[4:5], s3, v11, v[6:7]
	v_mad_u64_u32 v[6:7], s[4:5], s2, v8, 0
	v_mov_b32_e32 v19, v9
	v_add_u32_e32 v10, 0x4b0, v11
	v_mad_u64_u32 v[7:8], s[4:5], s3, v8, v[7:8]
	v_lshlrev_b64 v[4:5], 3, v[18:19]
	v_mad_u64_u32 v[8:9], s[4:5], s2, v10, 0
	v_add_co_u32_e32 v4, vcc, v2, v4
	v_addc_co_u32_e32 v5, vcc, v3, v5, vcc
	global_store_dwordx2 v[4:5], v[77:78], off
	v_lshlrev_b64 v[4:5], 3, v[6:7]
	v_mov_b32_e32 v6, v9
	v_mad_u64_u32 v[6:7], s[4:5], s3, v10, v[6:7]
	v_add_co_u32_e32 v4, vcc, v2, v4
	v_addc_co_u32_e32 v5, vcc, v3, v5, vcc
	v_mov_b32_e32 v9, v6
	global_store_dwordx2 v[4:5], v[56:57], off
	v_lshlrev_b64 v[4:5], 3, v[8:9]
	v_add_u32_e32 v8, 0x708, v11
	v_mad_u64_u32 v[6:7], s[4:5], s2, v8, 0
	v_add_u32_e32 v10, 0x960, v11
	v_add_co_u32_e32 v4, vcc, v2, v4
	v_mad_u64_u32 v[7:8], s[4:5], s3, v8, v[7:8]
	v_mad_u64_u32 v[8:9], s[4:5], s2, v10, 0
	v_addc_co_u32_e32 v5, vcc, v3, v5, vcc
	global_store_dwordx2 v[4:5], v[34:35], off
	v_lshlrev_b64 v[4:5], 3, v[6:7]
	v_mov_b32_e32 v6, v9
	v_mad_u64_u32 v[6:7], s[4:5], s3, v10, v[6:7]
	v_add_co_u32_e32 v4, vcc, v2, v4
	v_addc_co_u32_e32 v5, vcc, v3, v5, vcc
	v_mov_b32_e32 v9, v6
	global_store_dwordx2 v[4:5], v[32:33], off
	v_lshlrev_b64 v[4:5], 3, v[8:9]
	v_add_u32_e32 v8, 0xbb8, v11
	v_mad_u64_u32 v[6:7], s[4:5], s2, v8, 0
	v_add_u32_e32 v9, 0x168, v69
	v_mul_hi_u32 v10, v9, s0
	v_mad_u64_u32 v[7:8], s[4:5], s3, v8, v[7:8]
	v_add_co_u32_e32 v4, vcc, v2, v4
	v_lshrrev_b32_e32 v8, 6, v10
	v_mul_u32_u24_e32 v10, 0x258, v8
	v_sub_u32_e32 v9, v9, v10
	v_mad_u32_u24 v10, v8, s1, v9
	v_mad_u64_u32 v[8:9], s[4:5], s2, v10, 0
	v_addc_co_u32_e32 v5, vcc, v3, v5, vcc
	global_store_dwordx2 v[4:5], v[30:31], off
	v_lshlrev_b64 v[4:5], 3, v[6:7]
	v_mov_b32_e32 v6, v9
	v_mad_u64_u32 v[6:7], s[4:5], s3, v10, v[6:7]
	v_add_co_u32_e32 v4, vcc, v2, v4
	v_addc_co_u32_e32 v5, vcc, v3, v5, vcc
	v_mov_b32_e32 v9, v6
	v_add_u32_e32 v6, 0x258, v10
	global_store_dwordx2 v[4:5], v[0:1], off
	v_mad_u64_u32 v[4:5], s[4:5], s2, v6, 0
	v_lshlrev_b64 v[0:1], 3, v[8:9]
	v_add_u32_e32 v8, 0x4b0, v10
	v_mad_u64_u32 v[5:6], s[4:5], s3, v6, v[5:6]
	v_mad_u64_u32 v[6:7], s[4:5], s2, v8, 0
	v_add_co_u32_e32 v0, vcc, v2, v0
	v_addc_co_u32_e32 v1, vcc, v3, v1, vcc
	global_store_dwordx2 v[0:1], v[51:52], off
	v_lshlrev_b64 v[0:1], 3, v[4:5]
	v_mov_b32_e32 v4, v7
	v_mad_u64_u32 v[4:5], s[4:5], s3, v8, v[4:5]
	v_add_co_u32_e32 v0, vcc, v2, v0
	v_addc_co_u32_e32 v1, vcc, v3, v1, vcc
	v_mov_b32_e32 v7, v4
	global_store_dwordx2 v[0:1], v[49:50], off
	v_lshlrev_b64 v[0:1], 3, v[6:7]
	v_add_u32_e32 v6, 0x708, v10
	v_mad_u64_u32 v[4:5], s[4:5], s2, v6, 0
	v_add_u32_e32 v8, 0x960, v10
	v_add_co_u32_e32 v0, vcc, v2, v0
	v_mad_u64_u32 v[5:6], s[4:5], s3, v6, v[5:6]
	v_mad_u64_u32 v[6:7], s[4:5], s2, v8, 0
	v_addc_co_u32_e32 v1, vcc, v3, v1, vcc
	global_store_dwordx2 v[0:1], v[47:48], off
	v_lshlrev_b64 v[0:1], 3, v[4:5]
	v_mov_b32_e32 v4, v7
	v_mad_u64_u32 v[4:5], s[4:5], s3, v8, v[4:5]
	v_add_co_u32_e32 v0, vcc, v2, v0
	v_addc_co_u32_e32 v1, vcc, v3, v1, vcc
	v_mov_b32_e32 v7, v4
	global_store_dwordx2 v[0:1], v[45:46], off
	v_lshlrev_b64 v[0:1], 3, v[6:7]
	v_add_u32_e32 v6, 0xbb8, v10
	v_mad_u64_u32 v[4:5], s[4:5], s2, v6, 0
	v_add_co_u32_e32 v0, vcc, v2, v0
	v_mad_u64_u32 v[5:6], s[4:5], s3, v6, v[5:6]
	v_add_u32_e32 v6, 0x1e0, v69
	v_mul_hi_u32 v7, v6, s0
	v_addc_co_u32_e32 v1, vcc, v3, v1, vcc
	global_store_dwordx2 v[0:1], v[40:41], off
	v_lshlrev_b64 v[0:1], 3, v[4:5]
	v_lshrrev_b32_e32 v4, 6, v7
	v_mul_u32_u24_e32 v5, 0x258, v4
	v_sub_u32_e32 v5, v6, v5
	v_mad_u32_u24 v8, v4, s1, v5
	v_mad_u64_u32 v[4:5], s[0:1], s2, v8, 0
	v_add_u32_e32 v9, 0x258, v8
	v_add_co_u32_e32 v0, vcc, v2, v0
	v_mad_u64_u32 v[5:6], s[0:1], s3, v8, v[5:6]
	v_mad_u64_u32 v[6:7], s[0:1], s2, v9, 0
	v_addc_co_u32_e32 v1, vcc, v3, v1, vcc
	global_store_dwordx2 v[0:1], v[38:39], off
	v_lshlrev_b64 v[0:1], 3, v[4:5]
	v_mov_b32_e32 v4, v7
	v_mad_u64_u32 v[4:5], s[0:1], s3, v9, v[4:5]
	v_add_co_u32_e32 v0, vcc, v2, v0
	v_addc_co_u32_e32 v1, vcc, v3, v1, vcc
	v_mov_b32_e32 v7, v4
	global_store_dwordx2 v[0:1], v[28:29], off
	v_lshlrev_b64 v[0:1], 3, v[6:7]
	v_add_u32_e32 v6, 0x4b0, v8
	v_mad_u64_u32 v[4:5], s[0:1], s2, v6, 0
	v_add_u32_e32 v9, 0x708, v8
	v_add_co_u32_e32 v0, vcc, v2, v0
	v_mad_u64_u32 v[5:6], s[0:1], s3, v6, v[5:6]
	v_mad_u64_u32 v[6:7], s[0:1], s2, v9, 0
	v_addc_co_u32_e32 v1, vcc, v3, v1, vcc
	global_store_dwordx2 v[0:1], v[24:25], off
	v_lshlrev_b64 v[0:1], 3, v[4:5]
	v_mov_b32_e32 v4, v7
	v_mad_u64_u32 v[4:5], s[0:1], s3, v9, v[4:5]
	v_add_co_u32_e32 v0, vcc, v2, v0
	v_addc_co_u32_e32 v1, vcc, v3, v1, vcc
	v_mov_b32_e32 v7, v4
	global_store_dwordx2 v[0:1], v[20:21], off
	v_lshlrev_b64 v[0:1], 3, v[6:7]
	v_add_u32_e32 v6, 0x960, v8
	v_mad_u64_u32 v[4:5], s[0:1], s2, v6, 0
	v_add_u32_e32 v8, 0xbb8, v8
	v_add_co_u32_e32 v0, vcc, v2, v0
	v_mad_u64_u32 v[5:6], s[0:1], s3, v6, v[5:6]
	v_mad_u64_u32 v[6:7], s[0:1], s2, v8, 0
	v_addc_co_u32_e32 v1, vcc, v3, v1, vcc
	global_store_dwordx2 v[0:1], v[16:17], off
	v_lshlrev_b64 v[0:1], 3, v[4:5]
	v_mov_b32_e32 v4, v7
	v_mad_u64_u32 v[4:5], s[0:1], s3, v8, v[4:5]
	v_add_co_u32_e32 v0, vcc, v2, v0
	v_addc_co_u32_e32 v1, vcc, v3, v1, vcc
	v_mov_b32_e32 v7, v4
	global_store_dwordx2 v[0:1], v[14:15], off
	v_lshlrev_b64 v[0:1], 3, v[6:7]
	v_add_co_u32_e32 v0, vcc, v2, v0
	v_addc_co_u32_e32 v1, vcc, v3, v1, vcc
	global_store_dwordx2 v[0:1], v[12:13], off
.LBB0_15:
	s_endpgm
	.section	.rodata,"a",@progbits
	.p2align	6, 0x0
	.amdhsa_kernel fft_rtc_back_len3600_factors_10_10_6_6_wgs_120_tpt_120_halfLds_sp_op_CI_CI_sbrr_dirReg
		.amdhsa_group_segment_fixed_size 0
		.amdhsa_private_segment_fixed_size 0
		.amdhsa_kernarg_size 104
		.amdhsa_user_sgpr_count 6
		.amdhsa_user_sgpr_private_segment_buffer 1
		.amdhsa_user_sgpr_dispatch_ptr 0
		.amdhsa_user_sgpr_queue_ptr 0
		.amdhsa_user_sgpr_kernarg_segment_ptr 1
		.amdhsa_user_sgpr_dispatch_id 0
		.amdhsa_user_sgpr_flat_scratch_init 0
		.amdhsa_user_sgpr_private_segment_size 0
		.amdhsa_uses_dynamic_stack 0
		.amdhsa_system_sgpr_private_segment_wavefront_offset 0
		.amdhsa_system_sgpr_workgroup_id_x 1
		.amdhsa_system_sgpr_workgroup_id_y 0
		.amdhsa_system_sgpr_workgroup_id_z 0
		.amdhsa_system_sgpr_workgroup_info 0
		.amdhsa_system_vgpr_workitem_id 0
		.amdhsa_next_free_vgpr 128
		.amdhsa_next_free_sgpr 32
		.amdhsa_reserve_vcc 1
		.amdhsa_reserve_flat_scratch 0
		.amdhsa_float_round_mode_32 0
		.amdhsa_float_round_mode_16_64 0
		.amdhsa_float_denorm_mode_32 3
		.amdhsa_float_denorm_mode_16_64 3
		.amdhsa_dx10_clamp 1
		.amdhsa_ieee_mode 1
		.amdhsa_fp16_overflow 0
		.amdhsa_exception_fp_ieee_invalid_op 0
		.amdhsa_exception_fp_denorm_src 0
		.amdhsa_exception_fp_ieee_div_zero 0
		.amdhsa_exception_fp_ieee_overflow 0
		.amdhsa_exception_fp_ieee_underflow 0
		.amdhsa_exception_fp_ieee_inexact 0
		.amdhsa_exception_int_div_zero 0
	.end_amdhsa_kernel
	.text
.Lfunc_end0:
	.size	fft_rtc_back_len3600_factors_10_10_6_6_wgs_120_tpt_120_halfLds_sp_op_CI_CI_sbrr_dirReg, .Lfunc_end0-fft_rtc_back_len3600_factors_10_10_6_6_wgs_120_tpt_120_halfLds_sp_op_CI_CI_sbrr_dirReg
                                        ; -- End function
	.section	.AMDGPU.csdata,"",@progbits
; Kernel info:
; codeLenInByte = 17876
; NumSgprs: 36
; NumVgprs: 128
; ScratchSize: 0
; MemoryBound: 0
; FloatMode: 240
; IeeeMode: 1
; LDSByteSize: 0 bytes/workgroup (compile time only)
; SGPRBlocks: 4
; VGPRBlocks: 31
; NumSGPRsForWavesPerEU: 36
; NumVGPRsForWavesPerEU: 128
; Occupancy: 2
; WaveLimiterHint : 1
; COMPUTE_PGM_RSRC2:SCRATCH_EN: 0
; COMPUTE_PGM_RSRC2:USER_SGPR: 6
; COMPUTE_PGM_RSRC2:TRAP_HANDLER: 0
; COMPUTE_PGM_RSRC2:TGID_X_EN: 1
; COMPUTE_PGM_RSRC2:TGID_Y_EN: 0
; COMPUTE_PGM_RSRC2:TGID_Z_EN: 0
; COMPUTE_PGM_RSRC2:TIDIG_COMP_CNT: 0
	.type	__hip_cuid_f1fdc0e9088764f2,@object ; @__hip_cuid_f1fdc0e9088764f2
	.section	.bss,"aw",@nobits
	.globl	__hip_cuid_f1fdc0e9088764f2
__hip_cuid_f1fdc0e9088764f2:
	.byte	0                               ; 0x0
	.size	__hip_cuid_f1fdc0e9088764f2, 1

	.ident	"AMD clang version 19.0.0git (https://github.com/RadeonOpenCompute/llvm-project roc-6.4.0 25133 c7fe45cf4b819c5991fe208aaa96edf142730f1d)"
	.section	".note.GNU-stack","",@progbits
	.addrsig
	.addrsig_sym __hip_cuid_f1fdc0e9088764f2
	.amdgpu_metadata
---
amdhsa.kernels:
  - .args:
      - .actual_access:  read_only
        .address_space:  global
        .offset:         0
        .size:           8
        .value_kind:     global_buffer
      - .offset:         8
        .size:           8
        .value_kind:     by_value
      - .actual_access:  read_only
        .address_space:  global
        .offset:         16
        .size:           8
        .value_kind:     global_buffer
      - .actual_access:  read_only
        .address_space:  global
        .offset:         24
        .size:           8
        .value_kind:     global_buffer
      - .actual_access:  read_only
        .address_space:  global
        .offset:         32
        .size:           8
        .value_kind:     global_buffer
      - .offset:         40
        .size:           8
        .value_kind:     by_value
      - .actual_access:  read_only
        .address_space:  global
        .offset:         48
        .size:           8
        .value_kind:     global_buffer
      - .actual_access:  read_only
        .address_space:  global
        .offset:         56
        .size:           8
        .value_kind:     global_buffer
      - .offset:         64
        .size:           4
        .value_kind:     by_value
      - .actual_access:  read_only
        .address_space:  global
        .offset:         72
        .size:           8
        .value_kind:     global_buffer
      - .actual_access:  read_only
        .address_space:  global
        .offset:         80
        .size:           8
        .value_kind:     global_buffer
      - .actual_access:  read_only
        .address_space:  global
        .offset:         88
        .size:           8
        .value_kind:     global_buffer
      - .actual_access:  write_only
        .address_space:  global
        .offset:         96
        .size:           8
        .value_kind:     global_buffer
    .group_segment_fixed_size: 0
    .kernarg_segment_align: 8
    .kernarg_segment_size: 104
    .language:       OpenCL C
    .language_version:
      - 2
      - 0
    .max_flat_workgroup_size: 120
    .name:           fft_rtc_back_len3600_factors_10_10_6_6_wgs_120_tpt_120_halfLds_sp_op_CI_CI_sbrr_dirReg
    .private_segment_fixed_size: 0
    .sgpr_count:     36
    .sgpr_spill_count: 0
    .symbol:         fft_rtc_back_len3600_factors_10_10_6_6_wgs_120_tpt_120_halfLds_sp_op_CI_CI_sbrr_dirReg.kd
    .uniform_work_group_size: 1
    .uses_dynamic_stack: false
    .vgpr_count:     128
    .vgpr_spill_count: 0
    .wavefront_size: 64
amdhsa.target:   amdgcn-amd-amdhsa--gfx906
amdhsa.version:
  - 1
  - 2
...

	.end_amdgpu_metadata
